;; amdgpu-corpus repo=zjin-lcf/HeCBench kind=compiled arch=gfx90a opt=O3
	.text
	.amdgcn_target "amdgcn-amd-amdhsa--gfx90a"
	.amdhsa_code_object_version 6
	.section	.text._Z20test_interval_newtonIdEvP12interval_gpuIT_EPiS2_i,"axG",@progbits,_Z20test_interval_newtonIdEvP12interval_gpuIT_EPiS2_i,comdat
	.protected	_Z20test_interval_newtonIdEvP12interval_gpuIT_EPiS2_i ; -- Begin function _Z20test_interval_newtonIdEvP12interval_gpuIT_EPiS2_i
	.globl	_Z20test_interval_newtonIdEvP12interval_gpuIT_EPiS2_i
	.p2align	8
	.type	_Z20test_interval_newtonIdEvP12interval_gpuIT_EPiS2_i,@function
_Z20test_interval_newtonIdEvP12interval_gpuIT_EPiS2_i: ; @_Z20test_interval_newtonIdEvP12interval_gpuIT_EPiS2_i
; %bb.0:
	s_load_dword s33, s[4:5], 0x20
	s_load_dwordx8 s[12:19], s[4:5], 0x0
	s_add_u32 s0, s0, s9
	s_addc_u32 s1, s1, 0
	v_lshl_add_u32 v8, s8, 6, v0
	s_waitcnt lgkmcnt(0)
	s_cmp_lt_i32 s33, 1
	s_mov_b64 s[8:9], 0
	s_cbranch_scc1 .LBB0_92
; %bb.1:
	s_cmp_eq_u32 s33, 1
	s_cbranch_scc0 .LBB0_93
; %bb.2:
	s_mov_b32 s4, 0
	v_cvt_f64_i32_e32 v[0:1], v8
	s_mov_b32 s5, 0xbef00000
	v_mov_b32_e32 v32, 0
	s_mov_b32 s20, 0
	s_brev_b32 s22, 5
	s_brev_b32 s24, 1
	s_mov_b32 s26, 0
	v_ldexp_f64 v[10:11], -v[0:1], -16
	v_fma_f64 v[12:13], v[0:1], s[4:5], -2.0
	v_add_u32_e32 v33, 16, v32
	s_mov_b64 s[10:11], 0
	v_mov_b32_e32 v35, -1
	v_pk_mov_b32 v[16:17], s[16:17], s[16:17] op_sel:[0,1]
	v_pk_mov_b32 v[18:19], s[18:19], s[18:19] op_sel:[0,1]
	s_mov_b32 s21, 0xfff00000
	s_mov_b32 s23, 0x3eb0c6f7
	;; [unrolled: 1-line block ×4, first 2 shown]
	v_mov_b32_e32 v34, 0x7ff80000
	v_mov_b32_e32 v9, v8
	;; [unrolled: 1-line block ×3, first 2 shown]
	s_branch .LBB0_6
.LBB0_3:                                ;   in Loop: Header=BB0_6 Depth=1
	s_or_b64 exec, exec, s[34:35]
	s_orn2_b64 s[30:31], s[30:31], exec
	s_waitcnt vmcnt(0)
	v_pk_mov_b32 v[2:3], v[18:19], v[18:19] op_sel:[0,1]
	v_pk_mov_b32 v[0:1], v[16:17], v[16:17] op_sel:[0,1]
	v_mov_b32_e32 v35, v4
.LBB0_4:                                ;   in Loop: Header=BB0_6 Depth=1
	s_or_b64 exec, exec, s[28:29]
	s_andn2_b64 s[4:5], s[4:5], exec
	s_and_b64 s[28:29], s[30:31], exec
	s_or_b64 s[4:5], s[4:5], s[28:29]
	v_pk_mov_b32 v[4:5], v[0:1], v[0:1] op_sel:[0,1]
	v_pk_mov_b32 v[6:7], v[2:3], v[2:3] op_sel:[0,1]
.LBB0_5:                                ;   in Loop: Header=BB0_6 Depth=1
	s_or_b64 exec, exec, s[6:7]
	s_xor_b64 s[4:5], s[4:5], -1
	s_and_b64 s[4:5], exec, s[4:5]
	s_or_b64 s[10:11], s[4:5], s[10:11]
	v_pk_mov_b32 v[16:17], v[4:5], v[4:5] op_sel:[0,1]
	v_pk_mov_b32 v[18:19], v[6:7], v[6:7] op_sel:[0,1]
	s_andn2_b64 exec, exec, s[10:11]
	s_cbranch_execz .LBB0_94
.LBB0_6:                                ; =>This Inner Loop Header: Depth=1
	v_add_f64 v[22:23], v[16:17], v[18:19]
	v_fma_f64 v[0:1], v[22:23], 0.5, -1.0
	v_mul_f64 v[4:5], v[0:1], v[0:1]
	v_cmp_o_f64_e32 vcc, v[0:1], v[0:1]
	v_add_f64 v[0:1], v[16:17], v[16:17]
	v_add_f64 v[2:3], v[18:19], v[18:19]
	v_min_f64 v[6:7], v[0:1], v[2:3]
	v_max_f64 v[0:1], v[0:1], v[2:3]
	v_add_f64 v[6:7], v[12:13], v[6:7]
	v_add_f64 v[26:27], v[12:13], v[0:1]
	v_mul_f64 v[20:21], v[22:23], 0.5
	v_cndmask_b32_e32 v25, 0, v5, vcc
	v_cndmask_b32_e32 v24, 0, v4, vcc
	v_cmp_ge_f64_e32 vcc, 0, v[6:7]
	v_cmp_le_f64_e64 s[4:5], 0, v[26:27]
	v_fmac_f64_e32 v[24:25], v[10:11], v[20:21]
	v_fmac_f64_e32 v[4:5], v[10:11], v[20:21]
	s_and_b64 s[4:5], vcc, s[4:5]
                                        ; implicit-def: $sgpr6_sgpr7
                                        ; implicit-def: $vgpr30_vgpr31
                                        ; implicit-def: $vgpr28_vgpr29
	s_and_saveexec_b64 s[28:29], s[4:5]
	s_xor_b64 s[28:29], exec, s[28:29]
	s_cbranch_execz .LBB0_42
; %bb.7:                                ;   in Loop: Header=BB0_6 Depth=1
	v_cmp_eq_f64_e64 s[6:7], 0, v[6:7]
	v_cmp_neq_f64_e32 vcc, 0, v[26:27]
	v_cmp_eq_f64_e64 s[4:5], 0, v[26:27]
                                        ; implicit-def: $vgpr30_vgpr31
                                        ; implicit-def: $vgpr28_vgpr29
                                        ; implicit-def: $sgpr30_sgpr31
	s_and_saveexec_b64 s[34:35], s[6:7]
	s_xor_b64 s[34:35], exec, s[34:35]
	s_cbranch_execz .LBB0_19
; %bb.8:                                ;   in Loop: Header=BB0_6 Depth=1
	s_mov_b32 s6, 0
	s_mov_b32 s7, 0x7ff80000
	v_pk_mov_b32 v[30:31], s[6:7], s[6:7] op_sel:[0,1]
	v_pk_mov_b32 v[28:29], s[6:7], s[6:7] op_sel:[0,1]
	s_and_saveexec_b64 s[30:31], vcc
	s_cbranch_execz .LBB0_18
; %bb.9:                                ;   in Loop: Header=BB0_6 Depth=1
	v_cmp_neq_f64_e32 vcc, 0, v[24:25]
	v_cmp_neq_f64_e64 s[6:7], 0, v[4:5]
	s_or_b64 s[36:37], s[6:7], vcc
	v_pk_mov_b32 v[30:31], v[24:25], v[24:25] op_sel:[0,1]
	v_pk_mov_b32 v[28:29], v[4:5], v[4:5] op_sel:[0,1]
	s_and_saveexec_b64 s[6:7], s[36:37]
	s_cbranch_execz .LBB0_17
; %bb.10:                               ;   in Loop: Header=BB0_6 Depth=1
	v_cmp_ngt_f64_e32 vcc, 0, v[4:5]
                                        ; implicit-def: $sgpr38_sgpr39
                                        ; implicit-def: $vgpr30_vgpr31
	s_and_saveexec_b64 s[36:37], vcc
	s_xor_b64 s[36:37], exec, s[36:37]
	s_cbranch_execz .LBB0_14
; %bb.11:                               ;   in Loop: Header=BB0_6 Depth=1
	v_mov_b32_e32 v30, 0
	v_cmp_ngt_f64_e32 vcc, 0, v[24:25]
	v_mov_b32_e32 v31, 0xfff00000
	s_and_saveexec_b64 s[38:39], vcc
; %bb.12:                               ;   in Loop: Header=BB0_6 Depth=1
	v_div_scale_f64 v[0:1], s[40:41], v[26:27], v[26:27], v[24:25]
	v_rcp_f64_e32 v[2:3], v[0:1]
	v_div_scale_f64 v[28:29], vcc, v[24:25], v[26:27], v[24:25]
	v_fma_f64 v[30:31], -v[0:1], v[2:3], 1.0
	v_fmac_f64_e32 v[2:3], v[2:3], v[30:31]
	v_fma_f64 v[30:31], -v[0:1], v[2:3], 1.0
	v_fmac_f64_e32 v[2:3], v[2:3], v[30:31]
	v_mul_f64 v[30:31], v[28:29], v[2:3]
	v_fma_f64 v[0:1], -v[0:1], v[30:31], v[28:29]
	v_div_fmas_f64 v[0:1], v[0:1], v[2:3], v[30:31]
	v_div_fixup_f64 v[30:31], v[0:1], v[26:27], v[24:25]
; %bb.13:                               ;   in Loop: Header=BB0_6 Depth=1
	s_or_b64 exec, exec, s[38:39]
	s_mov_b32 s38, 0
	s_mov_b32 s39, 0x7ff00000
.LBB0_14:                               ;   in Loop: Header=BB0_6 Depth=1
	s_or_saveexec_b64 s[36:37], s[36:37]
	v_pk_mov_b32 v[28:29], s[38:39], s[38:39] op_sel:[0,1]
	s_xor_b64 exec, exec, s[36:37]
	s_cbranch_execz .LBB0_16
; %bb.15:                               ;   in Loop: Header=BB0_6 Depth=1
	v_div_scale_f64 v[0:1], s[38:39], v[26:27], v[26:27], v[4:5]
	v_rcp_f64_e32 v[2:3], v[0:1]
	v_div_scale_f64 v[28:29], vcc, v[4:5], v[26:27], v[4:5]
	v_fma_f64 v[30:31], -v[0:1], v[2:3], 1.0
	v_fmac_f64_e32 v[2:3], v[2:3], v[30:31]
	v_fma_f64 v[30:31], -v[0:1], v[2:3], 1.0
	v_fmac_f64_e32 v[2:3], v[2:3], v[30:31]
	v_mul_f64 v[30:31], v[28:29], v[2:3]
	v_fma_f64 v[0:1], -v[0:1], v[30:31], v[28:29]
	v_div_fmas_f64 v[0:1], v[0:1], v[2:3], v[30:31]
	v_mov_b32_e32 v30, 0
	v_div_fixup_f64 v[28:29], v[0:1], v[26:27], v[4:5]
	v_mov_b32_e32 v31, 0xfff00000
.LBB0_16:                               ;   in Loop: Header=BB0_6 Depth=1
	s_or_b64 exec, exec, s[36:37]
.LBB0_17:                               ;   in Loop: Header=BB0_6 Depth=1
	s_or_b64 exec, exec, s[6:7]
.LBB0_18:                               ;   in Loop: Header=BB0_6 Depth=1
	s_or_b64 exec, exec, s[30:31]
	s_mov_b64 s[30:31], 0
.LBB0_19:                               ;   in Loop: Header=BB0_6 Depth=1
	s_andn2_saveexec_b64 s[34:35], s[34:35]
	s_cbranch_execz .LBB0_41
; %bb.20:                               ;   in Loop: Header=BB0_6 Depth=1
	v_cmp_neq_f64_e32 vcc, 0, v[24:25]
	v_cmp_neq_f64_e64 s[6:7], 0, v[4:5]
	s_or_b64 s[36:37], s[6:7], vcc
                                        ; implicit-def: $vgpr30_vgpr31
                                        ; implicit-def: $vgpr28_vgpr29
                                        ; implicit-def: $sgpr6_sgpr7
	s_and_saveexec_b64 s[38:39], s[4:5]
	s_xor_b64 s[4:5], exec, s[38:39]
	s_cbranch_execz .LBB0_30
; %bb.21:                               ;   in Loop: Header=BB0_6 Depth=1
	v_pk_mov_b32 v[30:31], v[24:25], v[24:25] op_sel:[0,1]
	v_pk_mov_b32 v[28:29], v[4:5], v[4:5] op_sel:[0,1]
	s_and_saveexec_b64 s[6:7], s[36:37]
	s_cbranch_execz .LBB0_29
; %bb.22:                               ;   in Loop: Header=BB0_6 Depth=1
	v_cmp_ngt_f64_e32 vcc, 0, v[4:5]
                                        ; implicit-def: $vgpr28_vgpr29
                                        ; implicit-def: $sgpr40_sgpr41
	s_and_saveexec_b64 s[38:39], vcc
	s_xor_b64 s[38:39], exec, s[38:39]
	s_cbranch_execz .LBB0_26
; %bb.23:                               ;   in Loop: Header=BB0_6 Depth=1
	v_mov_b32_e32 v28, 0
	v_cmp_ngt_f64_e32 vcc, 0, v[24:25]
	v_mov_b32_e32 v29, 0x7ff00000
	s_and_saveexec_b64 s[40:41], vcc
; %bb.24:                               ;   in Loop: Header=BB0_6 Depth=1
	v_div_scale_f64 v[0:1], s[42:43], v[6:7], v[6:7], v[24:25]
	v_rcp_f64_e32 v[2:3], v[0:1]
	v_div_scale_f64 v[28:29], vcc, v[24:25], v[6:7], v[24:25]
	v_fma_f64 v[30:31], -v[0:1], v[2:3], 1.0
	v_fmac_f64_e32 v[2:3], v[2:3], v[30:31]
	v_fma_f64 v[30:31], -v[0:1], v[2:3], 1.0
	v_fmac_f64_e32 v[2:3], v[2:3], v[30:31]
	v_mul_f64 v[30:31], v[28:29], v[2:3]
	v_fma_f64 v[0:1], -v[0:1], v[30:31], v[28:29]
	v_div_fmas_f64 v[0:1], v[0:1], v[2:3], v[30:31]
	v_div_fixup_f64 v[28:29], v[0:1], v[6:7], v[24:25]
; %bb.25:                               ;   in Loop: Header=BB0_6 Depth=1
	s_or_b64 exec, exec, s[40:41]
	s_mov_b32 s40, 0
	s_mov_b32 s41, 0xfff00000
.LBB0_26:                               ;   in Loop: Header=BB0_6 Depth=1
	s_or_saveexec_b64 s[38:39], s[38:39]
	v_pk_mov_b32 v[30:31], s[40:41], s[40:41] op_sel:[0,1]
	s_xor_b64 exec, exec, s[38:39]
	s_cbranch_execz .LBB0_28
; %bb.27:                               ;   in Loop: Header=BB0_6 Depth=1
	v_div_scale_f64 v[0:1], s[40:41], v[6:7], v[6:7], v[4:5]
	v_rcp_f64_e32 v[2:3], v[0:1]
	v_div_scale_f64 v[28:29], vcc, v[4:5], v[6:7], v[4:5]
	v_fma_f64 v[30:31], -v[0:1], v[2:3], 1.0
	v_fmac_f64_e32 v[2:3], v[2:3], v[30:31]
	v_fma_f64 v[30:31], -v[0:1], v[2:3], 1.0
	v_fmac_f64_e32 v[2:3], v[2:3], v[30:31]
	v_mul_f64 v[30:31], v[28:29], v[2:3]
	v_fma_f64 v[0:1], -v[0:1], v[30:31], v[28:29]
	v_div_fmas_f64 v[0:1], v[0:1], v[2:3], v[30:31]
	v_mov_b32_e32 v28, 0
	v_div_fixup_f64 v[30:31], v[0:1], v[6:7], v[4:5]
	v_mov_b32_e32 v29, 0x7ff00000
.LBB0_28:                               ;   in Loop: Header=BB0_6 Depth=1
	s_or_b64 exec, exec, s[38:39]
.LBB0_29:                               ;   in Loop: Header=BB0_6 Depth=1
	s_or_b64 exec, exec, s[6:7]
	s_mov_b64 s[6:7], 0
.LBB0_30:                               ;   in Loop: Header=BB0_6 Depth=1
	s_andn2_saveexec_b64 s[4:5], s[4:5]
	s_cbranch_execz .LBB0_40
; %bb.31:                               ;   in Loop: Header=BB0_6 Depth=1
	s_mov_b64 s[40:41], 0
	v_pk_mov_b32 v[30:31], v[24:25], v[24:25] op_sel:[0,1]
	v_pk_mov_b32 v[28:29], v[4:5], v[4:5] op_sel:[0,1]
	s_and_saveexec_b64 s[38:39], s[36:37]
	s_cbranch_execz .LBB0_39
; %bb.32:                               ;   in Loop: Header=BB0_6 Depth=1
	v_cmp_ngt_f64_e32 vcc, 0, v[4:5]
                                        ; implicit-def: $sgpr36_sgpr37
                                        ; implicit-def: $vgpr28_vgpr29
                                        ; implicit-def: $sgpr42_sgpr43
	s_and_saveexec_b64 s[40:41], vcc
	s_xor_b64 s[40:41], exec, s[40:41]
	s_cbranch_execz .LBB0_36
; %bb.33:                               ;   in Loop: Header=BB0_6 Depth=1
	v_mov_b32_e32 v28, 0
	v_cmp_ngt_f64_e32 vcc, 0, v[24:25]
	s_mov_b64 s[36:37], 0
	v_mov_b32_e32 v29, 0x7ff00000
	s_and_saveexec_b64 s[42:43], vcc
	s_cbranch_execz .LBB0_35
; %bb.34:                               ;   in Loop: Header=BB0_6 Depth=1
	v_div_scale_f64 v[0:1], s[44:45], v[6:7], v[6:7], v[24:25]
	v_rcp_f64_e32 v[2:3], v[0:1]
	s_mov_b64 s[36:37], exec
	v_fma_f64 v[28:29], -v[0:1], v[2:3], 1.0
	v_fmac_f64_e32 v[2:3], v[2:3], v[28:29]
	v_fma_f64 v[28:29], -v[0:1], v[2:3], 1.0
	v_fmac_f64_e32 v[2:3], v[2:3], v[28:29]
	v_div_scale_f64 v[28:29], vcc, v[24:25], v[6:7], v[24:25]
	v_mul_f64 v[30:31], v[28:29], v[2:3]
	v_fma_f64 v[0:1], -v[0:1], v[30:31], v[28:29]
	s_nop 1
	v_div_fmas_f64 v[0:1], v[0:1], v[2:3], v[30:31]
	v_div_fixup_f64 v[28:29], v[0:1], v[6:7], v[24:25]
.LBB0_35:                               ;   in Loop: Header=BB0_6 Depth=1
	s_or_b64 exec, exec, s[42:43]
	s_mov_b32 s42, 0
	s_mov_b32 s43, 0xfff00000
	s_and_b64 s[36:37], s[36:37], exec
.LBB0_36:                               ;   in Loop: Header=BB0_6 Depth=1
	s_or_saveexec_b64 s[40:41], s[40:41]
	v_pk_mov_b32 v[30:31], s[42:43], s[42:43] op_sel:[0,1]
	s_xor_b64 exec, exec, s[40:41]
	s_cbranch_execz .LBB0_38
; %bb.37:                               ;   in Loop: Header=BB0_6 Depth=1
	v_div_scale_f64 v[0:1], s[42:43], v[26:27], v[26:27], v[4:5]
	v_rcp_f64_e32 v[2:3], v[0:1]
	v_div_scale_f64 v[28:29], vcc, v[4:5], v[26:27], v[4:5]
	s_or_b64 s[36:37], s[36:37], exec
	v_fma_f64 v[30:31], -v[0:1], v[2:3], 1.0
	v_fmac_f64_e32 v[2:3], v[2:3], v[30:31]
	v_fma_f64 v[30:31], -v[0:1], v[2:3], 1.0
	v_fmac_f64_e32 v[2:3], v[2:3], v[30:31]
	v_mul_f64 v[30:31], v[28:29], v[2:3]
	v_fma_f64 v[0:1], -v[0:1], v[30:31], v[28:29]
	v_div_fmas_f64 v[0:1], v[0:1], v[2:3], v[30:31]
	v_mov_b32_e32 v30, 0
	v_div_fixup_f64 v[28:29], v[0:1], v[26:27], v[4:5]
	v_mov_b32_e32 v31, 0xfff00000
.LBB0_38:                               ;   in Loop: Header=BB0_6 Depth=1
	s_or_b64 exec, exec, s[40:41]
	s_and_b64 s[40:41], s[36:37], exec
.LBB0_39:                               ;   in Loop: Header=BB0_6 Depth=1
	s_or_b64 exec, exec, s[38:39]
	s_andn2_b64 s[6:7], s[6:7], exec
	s_and_b64 s[36:37], s[40:41], exec
	s_or_b64 s[6:7], s[6:7], s[36:37]
.LBB0_40:                               ;   in Loop: Header=BB0_6 Depth=1
	s_or_b64 exec, exec, s[4:5]
	s_andn2_b64 s[4:5], s[30:31], exec
	s_and_b64 s[6:7], s[6:7], exec
	s_or_b64 s[30:31], s[4:5], s[6:7]
.LBB0_41:                               ;   in Loop: Header=BB0_6 Depth=1
	s_or_b64 exec, exec, s[34:35]
	s_and_b64 s[6:7], s[30:31], exec
.LBB0_42:                               ;   in Loop: Header=BB0_6 Depth=1
	s_andn2_saveexec_b64 s[28:29], s[28:29]
	s_cbranch_execz .LBB0_48
; %bb.43:                               ;   in Loop: Header=BB0_6 Depth=1
	v_cmp_gt_f64_e32 vcc, 0, v[26:27]
	v_cmp_ngt_f64_e64 s[4:5], 0, v[4:5]
	v_pk_mov_b32 v[0:1], v[26:27], v[26:27] op_sel:[0,1]
	v_pk_mov_b32 v[2:3], v[6:7], v[6:7] op_sel:[0,1]
	s_and_saveexec_b64 s[30:31], s[4:5]
	s_cbranch_execz .LBB0_47
; %bb.44:                               ;   in Loop: Header=BB0_6 Depth=1
	v_cmp_gt_f64_e64 s[4:5], 0, v[24:25]
	v_pk_mov_b32 v[2:3], v[26:27], v[26:27] op_sel:[0,1]
	v_pk_mov_b32 v[0:1], v[6:7], v[6:7] op_sel:[0,1]
	s_and_saveexec_b64 s[34:35], s[4:5]
; %bb.45:                               ;   in Loop: Header=BB0_6 Depth=1
	v_cndmask_b32_e32 v3, v7, v27, vcc
	v_cndmask_b32_e32 v2, v6, v26, vcc
	v_pk_mov_b32 v[0:1], v[2:3], v[2:3] op_sel:[0,1]
; %bb.46:                               ;   in Loop: Header=BB0_6 Depth=1
	s_or_b64 exec, exec, s[34:35]
.LBB0_47:                               ;   in Loop: Header=BB0_6 Depth=1
	s_or_b64 exec, exec, s[30:31]
	v_cndmask_b32_e32 v29, v25, v5, vcc
	v_cndmask_b32_e32 v28, v24, v4, vcc
	v_div_scale_f64 v[30:31], s[4:5], v[2:3], v[2:3], v[28:29]
	v_rcp_f64_e32 v[36:37], v[30:31]
	v_cndmask_b32_e32 v39, v5, v25, vcc
	v_cndmask_b32_e32 v38, v4, v24, vcc
	s_andn2_b64 s[6:7], s[6:7], exec
	v_fma_f64 v[40:41], -v[30:31], v[36:37], 1.0
	v_fmac_f64_e32 v[36:37], v[36:37], v[40:41]
	v_fma_f64 v[40:41], -v[30:31], v[36:37], 1.0
	v_fmac_f64_e32 v[36:37], v[36:37], v[40:41]
	v_div_scale_f64 v[40:41], vcc, v[28:29], v[2:3], v[28:29]
	v_mul_f64 v[42:43], v[40:41], v[36:37]
	v_fma_f64 v[30:31], -v[30:31], v[42:43], v[40:41]
	v_div_scale_f64 v[40:41], s[4:5], v[0:1], v[0:1], v[38:39]
	v_rcp_f64_e32 v[44:45], v[40:41]
	v_div_fmas_f64 v[30:31], v[30:31], v[36:37], v[42:43]
	v_div_fixup_f64 v[30:31], v[30:31], v[2:3], v[28:29]
	v_fma_f64 v[2:3], -v[40:41], v[44:45], 1.0
	v_fmac_f64_e32 v[44:45], v[44:45], v[2:3]
	v_fma_f64 v[2:3], -v[40:41], v[44:45], 1.0
	v_fmac_f64_e32 v[44:45], v[44:45], v[2:3]
	v_div_scale_f64 v[2:3], vcc, v[38:39], v[0:1], v[38:39]
	v_mul_f64 v[28:29], v[2:3], v[44:45]
	v_fma_f64 v[2:3], -v[40:41], v[28:29], v[2:3]
	s_nop 1
	v_div_fmas_f64 v[2:3], v[2:3], v[44:45], v[28:29]
	v_div_fixup_f64 v[28:29], v[2:3], v[0:1], v[38:39]
.LBB0_48:                               ;   in Loop: Header=BB0_6 Depth=1
	s_or_b64 exec, exec, s[28:29]
	v_pk_mov_b32 v[2:3], s[26:27], s[26:27] op_sel:[0,1]
	v_pk_mov_b32 v[0:1], v[2:3], v[2:3] op_sel:[0,1]
	s_and_saveexec_b64 s[4:5], s[6:7]
	s_cbranch_execz .LBB0_54
; %bb.49:                               ;   in Loop: Header=BB0_6 Depth=1
	v_cmp_ngt_f64_e32 vcc, 0, v[4:5]
                                        ; implicit-def: $vgpr0_vgpr1
	s_and_saveexec_b64 s[28:29], vcc
	s_xor_b64 s[28:29], exec, s[28:29]
; %bb.50:                               ;   in Loop: Header=BB0_6 Depth=1
	v_div_scale_f64 v[0:1], s[30:31], v[26:27], v[26:27], v[24:25]
	v_rcp_f64_e32 v[2:3], v[0:1]
	v_div_scale_f64 v[4:5], vcc, v[24:25], v[26:27], v[24:25]
	v_fma_f64 v[6:7], -v[0:1], v[2:3], 1.0
	v_fmac_f64_e32 v[2:3], v[2:3], v[6:7]
	v_fma_f64 v[6:7], -v[0:1], v[2:3], 1.0
	v_fmac_f64_e32 v[2:3], v[2:3], v[6:7]
	v_mul_f64 v[6:7], v[4:5], v[2:3]
	v_fma_f64 v[0:1], -v[0:1], v[6:7], v[4:5]
	v_div_fmas_f64 v[0:1], v[0:1], v[2:3], v[6:7]
	v_div_fixup_f64 v[0:1], v[0:1], v[26:27], v[24:25]
                                        ; implicit-def: $vgpr6_vgpr7
                                        ; implicit-def: $vgpr4_vgpr5
; %bb.51:                               ;   in Loop: Header=BB0_6 Depth=1
	s_andn2_saveexec_b64 s[28:29], s[28:29]
; %bb.52:                               ;   in Loop: Header=BB0_6 Depth=1
	v_div_scale_f64 v[0:1], s[30:31], v[6:7], v[6:7], v[4:5]
	v_rcp_f64_e32 v[2:3], v[0:1]
	v_div_scale_f64 v[24:25], vcc, v[4:5], v[6:7], v[4:5]
	v_fma_f64 v[26:27], -v[0:1], v[2:3], 1.0
	v_fmac_f64_e32 v[2:3], v[2:3], v[26:27]
	v_fma_f64 v[26:27], -v[0:1], v[2:3], 1.0
	v_fmac_f64_e32 v[2:3], v[2:3], v[26:27]
	v_mul_f64 v[26:27], v[24:25], v[2:3]
	v_fma_f64 v[0:1], -v[0:1], v[26:27], v[24:25]
	v_div_fmas_f64 v[0:1], v[0:1], v[2:3], v[26:27]
	v_div_fixup_f64 v[0:1], v[0:1], v[6:7], v[4:5]
; %bb.53:                               ;   in Loop: Header=BB0_6 Depth=1
	s_or_b64 exec, exec, s[28:29]
	v_add_f64 v[2:3], v[20:21], s[20:21]
	v_max_f64 v[4:5], v[16:17], v[16:17]
	v_add_f64 v[0:1], v[20:21], -v[0:1]
	v_max_f64 v[2:3], v[2:3], v[4:5]
	v_max_f64 v[4:5], v[18:19], v[18:19]
	v_min_f64 v[4:5], v[0:1], v[4:5]
	v_cmp_nle_f64_e32 vcc, v[2:3], v[4:5]
	v_cndmask_b32_e32 v1, v3, v34, vcc
	v_cndmask_b32_e64 v0, v2, 0, vcc
	v_cndmask_b32_e32 v3, v5, v34, vcc
	v_cndmask_b32_e64 v2, v4, 0, vcc
.LBB0_54:                               ;   in Loop: Header=BB0_6 Depth=1
	s_or_b64 exec, exec, s[4:5]
	v_add_f64 v[4:5], v[20:21], -v[28:29]
	v_max_f64 v[24:25], v[16:17], v[16:17]
	v_add_f64 v[6:7], v[20:21], -v[30:31]
	v_max_f64 v[4:5], v[4:5], v[24:25]
	v_max_f64 v[24:25], v[18:19], v[18:19]
	v_min_f64 v[6:7], v[6:7], v[24:25]
	v_cmp_nle_f64_e32 vcc, v[4:5], v[6:7]
	v_cndmask_b32_e32 v5, v5, v34, vcc
	v_cndmask_b32_e64 v4, v4, 0, vcc
	v_cndmask_b32_e32 v7, v7, v34, vcc
	v_cndmask_b32_e64 v6, v6, 0, vcc
	v_add_f64 v[24:25], v[4:5], v[6:7]
	v_cmp_o_f64_e32 vcc, v[24:25], v[24:25]
	s_and_saveexec_b64 s[28:29], vcc
	s_cbranch_execz .LBB0_66
; %bb.55:                               ;   in Loop: Header=BB0_6 Depth=1
	v_mul_f64 v[24:25], v[24:25], 0.5
	v_add_f64 v[26:27], v[6:7], -v[4:5]
	v_mul_f64 v[24:25], |v[24:25]|, s[22:23]
	v_cmp_nle_f64_e32 vcc, v[26:27], v[24:25]
	s_mov_b64 s[34:35], -1
	s_and_saveexec_b64 s[30:31], vcc
	s_cbranch_execz .LBB0_63
; %bb.56:                               ;   in Loop: Header=BB0_6 Depth=1
	v_add_f64 v[30:31], v[4:5], -1.0
	v_add_f64 v[28:29], v[6:7], -1.0
	v_cmp_le_f64_e32 vcc, 0, v[30:31]
	v_mul_f64 v[24:25], v[30:31], v[30:31]
	v_mul_f64 v[26:27], v[28:29], v[28:29]
	s_and_saveexec_b64 s[4:5], vcc
	s_xor_b64 s[4:5], exec, s[4:5]
; %bb.57:                               ;   in Loop: Header=BB0_6 Depth=1
	v_mul_f64 v[26:27], v[30:31], v[30:31]
	v_mul_f64 v[24:25], v[28:29], v[28:29]
                                        ; implicit-def: $vgpr28_vgpr29
; %bb.58:                               ;   in Loop: Header=BB0_6 Depth=1
	s_andn2_saveexec_b64 s[4:5], s[4:5]
	s_cbranch_execz .LBB0_62
; %bb.59:                               ;   in Loop: Header=BB0_6 Depth=1
	v_cmp_ge_f64_e32 vcc, 0, v[28:29]
	s_and_saveexec_b64 s[34:35], vcc
	s_xor_b64 s[34:35], exec, s[34:35]
	s_andn2_saveexec_b64 s[34:35], s[34:35]
; %bb.60:                               ;   in Loop: Header=BB0_6 Depth=1
	v_max_f64 v[24:25], v[24:25], v[26:27]
	v_pk_mov_b32 v[26:27], 0, 0
; %bb.61:                               ;   in Loop: Header=BB0_6 Depth=1
	s_or_b64 exec, exec, s[34:35]
.LBB0_62:                               ;   in Loop: Header=BB0_6 Depth=1
	s_or_b64 exec, exec, s[4:5]
	v_mul_f64 v[28:29], v[10:11], v[4:5]
	v_mul_f64 v[30:31], v[10:11], v[6:7]
	v_min_f64 v[36:37], v[28:29], v[30:31]
	v_max_f64 v[28:29], v[28:29], v[30:31]
	v_add_f64 v[26:27], v[36:37], v[26:27]
	v_add_f64 v[24:25], v[28:29], v[24:25]
	;; [unrolled: 1-line block ×3, first 2 shown]
	v_add_f64 v[24:25], v[24:25], -v[26:27]
	v_cmp_u_f64_e32 vcc, v[28:29], v[28:29]
	v_cmp_ge_f64_e64 s[4:5], s[22:23], v[24:25]
	s_or_b64 s[4:5], vcc, s[4:5]
	s_orn2_b64 s[34:35], s[4:5], exec
.LBB0_63:                               ;   in Loop: Header=BB0_6 Depth=1
	s_or_b64 exec, exec, s[30:31]
	s_and_saveexec_b64 s[4:5], s[34:35]
	s_cbranch_execz .LBB0_65
; %bb.64:                               ;   in Loop: Header=BB0_6 Depth=1
	v_ashrrev_i32_e32 v15, 31, v14
	v_lshlrev_b64 v[24:25], 4, v[14:15]
	v_mov_b32_e32 v9, s13
	v_add_co_u32_e32 v24, vcc, s12, v24
	v_addc_co_u32_e32 v25, vcc, v9, v25, vcc
	global_store_dwordx4 v[24:25], v[4:7], off
	v_add_u32_e32 v14, 0x10000, v14
	v_pk_mov_b32 v[6:7], s[26:27], s[26:27] op_sel:[0,1]
	v_pk_mov_b32 v[4:5], v[6:7], v[6:7] op_sel:[0,1]
	v_mov_b32_e32 v9, v14
.LBB0_65:                               ;   in Loop: Header=BB0_6 Depth=1
	s_or_b64 exec, exec, s[4:5]
.LBB0_66:                               ;   in Loop: Header=BB0_6 Depth=1
	s_or_b64 exec, exec, s[28:29]
	s_and_saveexec_b64 s[28:29], s[6:7]
	s_cbranch_execz .LBB0_80
; %bb.67:                               ;   in Loop: Header=BB0_6 Depth=1
	v_add_f64 v[24:25], v[0:1], v[2:3]
	v_cmp_o_f64_e32 vcc, v[24:25], v[24:25]
	s_and_saveexec_b64 s[30:31], vcc
	s_cbranch_execz .LBB0_79
; %bb.68:                               ;   in Loop: Header=BB0_6 Depth=1
	v_mul_f64 v[24:25], v[24:25], 0.5
	v_add_f64 v[26:27], v[2:3], -v[0:1]
	v_mul_f64 v[24:25], |v[24:25]|, s[22:23]
	v_cmp_nle_f64_e32 vcc, v[26:27], v[24:25]
	s_mov_b64 s[36:37], -1
	s_and_saveexec_b64 s[34:35], vcc
	s_cbranch_execz .LBB0_76
; %bb.69:                               ;   in Loop: Header=BB0_6 Depth=1
	v_add_f64 v[30:31], v[0:1], -1.0
	v_add_f64 v[28:29], v[2:3], -1.0
	v_cmp_le_f64_e32 vcc, 0, v[30:31]
	v_mul_f64 v[24:25], v[30:31], v[30:31]
	v_mul_f64 v[26:27], v[28:29], v[28:29]
	s_and_saveexec_b64 s[4:5], vcc
	s_xor_b64 s[4:5], exec, s[4:5]
; %bb.70:                               ;   in Loop: Header=BB0_6 Depth=1
	v_mul_f64 v[26:27], v[30:31], v[30:31]
	v_mul_f64 v[24:25], v[28:29], v[28:29]
                                        ; implicit-def: $vgpr28_vgpr29
; %bb.71:                               ;   in Loop: Header=BB0_6 Depth=1
	s_andn2_saveexec_b64 s[4:5], s[4:5]
	s_cbranch_execz .LBB0_75
; %bb.72:                               ;   in Loop: Header=BB0_6 Depth=1
	v_cmp_ge_f64_e32 vcc, 0, v[28:29]
	s_and_saveexec_b64 s[36:37], vcc
	s_xor_b64 s[36:37], exec, s[36:37]
	s_andn2_saveexec_b64 s[36:37], s[36:37]
; %bb.73:                               ;   in Loop: Header=BB0_6 Depth=1
	v_max_f64 v[24:25], v[24:25], v[26:27]
	v_pk_mov_b32 v[26:27], 0, 0
; %bb.74:                               ;   in Loop: Header=BB0_6 Depth=1
	s_or_b64 exec, exec, s[36:37]
.LBB0_75:                               ;   in Loop: Header=BB0_6 Depth=1
	s_or_b64 exec, exec, s[4:5]
	v_mul_f64 v[28:29], v[10:11], v[0:1]
	v_mul_f64 v[30:31], v[10:11], v[2:3]
	v_min_f64 v[36:37], v[28:29], v[30:31]
	v_max_f64 v[28:29], v[28:29], v[30:31]
	v_add_f64 v[26:27], v[36:37], v[26:27]
	v_add_f64 v[24:25], v[28:29], v[24:25]
	;; [unrolled: 1-line block ×3, first 2 shown]
	v_add_f64 v[24:25], v[24:25], -v[26:27]
	v_cmp_u_f64_e32 vcc, v[28:29], v[28:29]
	v_cmp_ge_f64_e64 s[4:5], s[22:23], v[24:25]
	s_or_b64 s[4:5], vcc, s[4:5]
	s_orn2_b64 s[36:37], s[4:5], exec
.LBB0_76:                               ;   in Loop: Header=BB0_6 Depth=1
	s_or_b64 exec, exec, s[34:35]
	s_and_saveexec_b64 s[4:5], s[36:37]
	s_cbranch_execz .LBB0_78
; %bb.77:                               ;   in Loop: Header=BB0_6 Depth=1
	v_ashrrev_i32_e32 v15, 31, v14
	v_lshlrev_b64 v[24:25], 4, v[14:15]
	v_mov_b32_e32 v9, s13
	v_add_co_u32_e32 v24, vcc, s12, v24
	v_addc_co_u32_e32 v25, vcc, v9, v25, vcc
	global_store_dwordx4 v[24:25], v[0:3], off
	v_add_u32_e32 v14, 0x10000, v14
	v_pk_mov_b32 v[2:3], s[26:27], s[26:27] op_sel:[0,1]
	v_pk_mov_b32 v[0:1], v[2:3], v[2:3] op_sel:[0,1]
	v_mov_b32_e32 v9, v14
.LBB0_78:                               ;   in Loop: Header=BB0_6 Depth=1
	s_or_b64 exec, exec, s[4:5]
.LBB0_79:                               ;   in Loop: Header=BB0_6 Depth=1
	s_or_b64 exec, exec, s[30:31]
.LBB0_80:                               ;   in Loop: Header=BB0_6 Depth=1
	s_or_b64 exec, exec, s[28:29]
	v_add_f64 v[24:25], v[18:19], -v[16:17]
	v_mul_f64 v[24:25], v[24:25], s[24:25]
	v_cmp_o_f64_e32 vcc, v[22:23], v[22:23]
	v_cndmask_b32_e32 v27, 0, v25, vcc
	v_cndmask_b32_e32 v26, 0, v24, vcc
	v_add_f64 v[22:23], v[4:5], v[6:7]
	v_add_f64 v[24:25], v[6:7], -v[4:5]
	v_cmp_o_f64_e32 vcc, v[22:23], v[22:23]
	v_cmp_gt_f64_e64 s[4:5], v[24:25], v[26:27]
	s_and_b64 s[30:31], vcc, s[4:5]
	s_xor_b64 s[4:5], s[30:31], -1
                                        ; implicit-def: $sgpr28_sgpr29
                                        ; implicit-def: $vgpr24_vgpr25
	s_and_saveexec_b64 s[34:35], s[4:5]
; %bb.81:                               ;   in Loop: Header=BB0_6 Depth=1
	v_add_f64 v[24:25], v[0:1], v[2:3]
	v_add_f64 v[28:29], v[2:3], -v[0:1]
	v_cmp_o_f64_e32 vcc, v[24:25], v[24:25]
	v_cmp_gt_f64_e64 s[4:5], v[28:29], v[26:27]
	s_and_b64 s[4:5], vcc, s[4:5]
	s_and_b64 s[28:29], s[6:7], exec
	s_andn2_b64 s[6:7], s[30:31], exec
	s_and_b64 s[4:5], s[4:5], exec
	s_or_b64 s[30:31], s[6:7], s[4:5]
; %bb.82:                               ;   in Loop: Header=BB0_6 Depth=1
	s_or_b64 exec, exec, s[34:35]
	s_and_saveexec_b64 s[4:5], s[30:31]
; %bb.83:                               ;   in Loop: Header=BB0_6 Depth=1
	v_add_f64 v[22:23], v[16:17], v[20:21]
	v_add_f64 v[24:25], v[20:21], v[18:19]
	s_or_b64 s[28:29], s[28:29], exec
	v_pk_mov_b32 v[0:1], v[20:21], v[20:21] op_sel:[0,1]
	v_pk_mov_b32 v[2:3], v[18:19], v[18:19] op_sel:[0,1]
	v_pk_mov_b32 v[4:5], v[16:17], v[16:17] op_sel:[0,1]
	v_pk_mov_b32 v[6:7], v[20:21], v[20:21] op_sel:[0,1]
; %bb.84:                               ;   in Loop: Header=BB0_6 Depth=1
	s_or_b64 exec, exec, s[4:5]
	v_cmp_o_f64_e64 s[4:5], v[24:25], v[24:25]
	v_cmp_o_f64_e32 vcc, v[22:23], v[22:23]
	s_and_b64 s[28:29], s[4:5], s[28:29]
                                        ; implicit-def: $sgpr4_sgpr5
	s_and_saveexec_b64 s[6:7], vcc
	s_xor_b64 s[6:7], exec, s[6:7]
	s_cbranch_execz .LBB0_88
; %bb.85:                               ;   in Loop: Header=BB0_6 Depth=1
	s_and_saveexec_b64 s[4:5], s[28:29]
	s_cbranch_execz .LBB0_87
; %bb.86:                               ;   in Loop: Header=BB0_6 Depth=1
	v_add_u32_e32 v15, 1, v35
	v_lshl_add_u32 v16, v35, 4, v33
	v_mov_b32_e32 v35, v15
	buffer_store_dword v1, v16, s[0:3], 0 offen offset:4
	buffer_store_dword v0, v16, s[0:3], 0 offen
	buffer_store_dword v3, v16, s[0:3], 0 offen offset:12
	buffer_store_dword v2, v16, s[0:3], 0 offen offset:8
.LBB0_87:                               ;   in Loop: Header=BB0_6 Depth=1
	s_or_b64 exec, exec, s[4:5]
	s_mov_b64 s[4:5], -1
                                        ; implicit-def: $vgpr2_vgpr3
                                        ; implicit-def: $vgpr18_vgpr19
                                        ; implicit-def: $vgpr16_vgpr17
.LBB0_88:                               ;   in Loop: Header=BB0_6 Depth=1
	s_andn2_saveexec_b64 s[6:7], s[6:7]
	s_cbranch_execz .LBB0_5
; %bb.89:                               ;   in Loop: Header=BB0_6 Depth=1
	s_xor_b64 s[34:35], s[28:29], -1
	s_mov_b64 s[30:31], -1
	s_and_saveexec_b64 s[28:29], s[34:35]
	s_cbranch_execz .LBB0_4
; %bb.90:                               ;   in Loop: Header=BB0_6 Depth=1
	v_cmp_ne_u32_e32 vcc, -1, v35
	s_mov_b64 s[30:31], 0
	v_mov_b32_e32 v4, -1
	s_and_saveexec_b64 s[34:35], vcc
	s_cbranch_execz .LBB0_3
; %bb.91:                               ;   in Loop: Header=BB0_6 Depth=1
	v_lshl_add_u32 v0, v35, 4, v32
	buffer_load_dword v16, v0, s[0:3], 0 offen
	buffer_load_dword v17, v0, s[0:3], 0 offen offset:4
	buffer_load_dword v18, v0, s[0:3], 0 offen offset:8
	;; [unrolled: 1-line block ×3, first 2 shown]
	s_mov_b64 s[30:31], exec
	v_add_u32_e32 v4, -1, v35
	s_branch .LBB0_3
.LBB0_92:
	s_mov_b64 s[4:5], 0
                                        ; implicit-def: $vgpr9
	s_cbranch_execnz .LBB0_95
	s_branch .LBB0_96
.LBB0_93:
	s_mov_b64 s[4:5], -1
                                        ; implicit-def: $vgpr9
	s_branch .LBB0_96
.LBB0_94:
	s_or_b64 exec, exec, s[10:11]
	s_mov_b64 s[4:5], 0
	s_branch .LBB0_96
.LBB0_95:
	s_cmp_lg_u32 s33, 0
	s_mov_b64 s[8:9], -1
	s_cselect_b64 s[4:5], -1, 0
                                        ; implicit-def: $vgpr9
.LBB0_96:
	v_cvt_f64_i32_e32 v[6:7], v8
	s_andn2_b64 vcc, exec, s[4:5]
	v_ldexp_f64 v[4:5], -v[6:7], -16
	s_cbranch_vccz .LBB0_98
; %bb.97:
	s_and_b64 vcc, exec, s[8:9]
	s_cbranch_vccnz .LBB0_173
	s_branch .LBB0_248
.LBB0_98:
	v_mov_b32_e32 v0, s17
	buffer_store_dword v0, off, s[0:3], 0 offset:4
	v_mov_b32_e32 v0, s16
	s_mov_b32 s4, 0
	buffer_store_dword v0, off, s[0:3], 0
	v_mov_b32_e32 v0, s19
	s_mov_b32 s5, 0xbef00000
	v_mov_b32_e32 v34, 0
	s_brev_b32 s20, 5
	s_mov_b32 s22, 0
	s_brev_b32 s24, 1
	s_mov_b32 s26, 0
	buffer_store_dword v0, off, s[0:3], 0 offset:12
	v_mov_b32_e32 v0, s18
	v_fma_f64 v[10:11], v[6:7], s[4:5], -2.0
	v_add_u32_e32 v35, 16, v34
	s_mov_b64 s[10:11], 0
	v_mov_b32_e32 v38, 0
	s_mov_b32 s21, 0x3eb0c6f7
	s_mov_b32 s23, 0xfff00000
	;; [unrolled: 1-line block ×4, first 2 shown]
	v_mov_b32_e32 v36, 0x7ff80000
	v_mov_b32_e32 v37, v8
	;; [unrolled: 1-line block ×3, first 2 shown]
	buffer_store_dword v0, off, s[0:3], 0 offset:8
	s_branch .LBB0_101
.LBB0_99:                               ;   in Loop: Header=BB0_101 Depth=1
	s_or_b64 exec, exec, s[4:5]
	v_mov_b32_e32 v13, v12
	v_mov_b32_e32 v9, v37
.LBB0_100:                              ;   in Loop: Header=BB0_101 Depth=1
	s_or_b64 exec, exec, s[28:29]
	v_cmp_eq_u32_e32 vcc, -1, v39
	s_or_b64 s[10:11], vcc, s[10:11]
	v_mov_b32_e32 v37, v9
	v_mov_b32_e32 v12, v13
	;; [unrolled: 1-line block ×3, first 2 shown]
	s_andn2_b64 exec, exec, s[10:11]
	s_cbranch_execz .LBB0_172
.LBB0_101:                              ; =>This Inner Loop Header: Depth=1
	v_lshl_add_u32 v40, v38, 4, v34
	buffer_load_dword v0, v40, s[0:3], 0 offen
	buffer_load_dword v1, v40, s[0:3], 0 offen offset:4
	buffer_load_dword v2, v40, s[0:3], 0 offen offset:8
	;; [unrolled: 1-line block ×3, first 2 shown]
	v_add_u32_e32 v39, -1, v38
	s_mov_b64 s[6:7], 0
                                        ; implicit-def: $vgpr13
                                        ; implicit-def: $vgpr9
	s_waitcnt vmcnt(0)
	v_add_f64 v[18:19], v[0:1], v[2:3]
	v_add_f64 v[16:17], v[2:3], -v[0:1]
	v_cmp_u_f64_e64 s[4:5], v[18:19], v[18:19]
	v_cmp_o_f64_e32 vcc, v[18:19], v[18:19]
	v_mul_f64 v[14:15], v[18:19], 0.5
	s_and_saveexec_b64 s[8:9], vcc
	s_xor_b64 s[8:9], exec, s[8:9]
	s_cbranch_execnz .LBB0_104
; %bb.102:                              ;   in Loop: Header=BB0_101 Depth=1
	s_andn2_saveexec_b64 s[8:9], s[8:9]
	s_cbranch_execnz .LBB0_115
.LBB0_103:                              ;   in Loop: Header=BB0_101 Depth=1
	s_or_b64 exec, exec, s[8:9]
	s_and_saveexec_b64 s[28:29], s[6:7]
	s_cbranch_execz .LBB0_100
	s_branch .LBB0_116
.LBB0_104:                              ;   in Loop: Header=BB0_101 Depth=1
	v_mul_f64 v[14:15], v[18:19], 0.5
	v_mul_f64 v[18:19], |v[14:15]|, s[20:21]
	v_cmp_nle_f64_e32 vcc, v[16:17], v[18:19]
	s_mov_b64 s[6:7], -1
	s_mov_b64 s[30:31], 0
	s_and_saveexec_b64 s[28:29], vcc
	s_cbranch_execz .LBB0_112
; %bb.105:                              ;   in Loop: Header=BB0_101 Depth=1
	v_add_f64 v[24:25], v[0:1], -1.0
	v_add_f64 v[22:23], v[2:3], -1.0
	v_cmp_le_f64_e32 vcc, 0, v[24:25]
	v_mul_f64 v[18:19], v[24:25], v[24:25]
	v_mul_f64 v[20:21], v[22:23], v[22:23]
	s_and_saveexec_b64 s[6:7], vcc
	s_xor_b64 s[6:7], exec, s[6:7]
; %bb.106:                              ;   in Loop: Header=BB0_101 Depth=1
	v_mul_f64 v[20:21], v[24:25], v[24:25]
	v_mul_f64 v[18:19], v[22:23], v[22:23]
                                        ; implicit-def: $vgpr22_vgpr23
; %bb.107:                              ;   in Loop: Header=BB0_101 Depth=1
	s_andn2_saveexec_b64 s[6:7], s[6:7]
	s_cbranch_execz .LBB0_111
; %bb.108:                              ;   in Loop: Header=BB0_101 Depth=1
	v_cmp_ge_f64_e32 vcc, 0, v[22:23]
	s_and_saveexec_b64 s[30:31], vcc
	s_xor_b64 s[30:31], exec, s[30:31]
	s_andn2_saveexec_b64 s[30:31], s[30:31]
; %bb.109:                              ;   in Loop: Header=BB0_101 Depth=1
	v_max_f64 v[18:19], v[18:19], v[20:21]
	v_pk_mov_b32 v[20:21], 0, 0
; %bb.110:                              ;   in Loop: Header=BB0_101 Depth=1
	s_or_b64 exec, exec, s[30:31]
.LBB0_111:                              ;   in Loop: Header=BB0_101 Depth=1
	s_or_b64 exec, exec, s[6:7]
	v_mul_f64 v[22:23], v[4:5], v[0:1]
	v_mul_f64 v[24:25], v[4:5], v[2:3]
	v_min_f64 v[26:27], v[22:23], v[24:25]
	v_max_f64 v[22:23], v[22:23], v[24:25]
	v_add_f64 v[20:21], v[26:27], v[20:21]
	v_add_f64 v[18:19], v[22:23], v[18:19]
	;; [unrolled: 1-line block ×3, first 2 shown]
	v_add_f64 v[18:19], v[18:19], -v[20:21]
	v_cmp_u_f64_e32 vcc, v[22:23], v[22:23]
	v_cmp_ge_f64_e64 s[6:7], s[20:21], v[18:19]
	s_or_b64 s[6:7], vcc, s[6:7]
	s_mov_b64 s[30:31], exec
	s_orn2_b64 s[6:7], s[6:7], exec
.LBB0_112:                              ;   in Loop: Header=BB0_101 Depth=1
	s_or_b64 exec, exec, s[28:29]
                                        ; implicit-def: $vgpr13
                                        ; implicit-def: $vgpr9
	s_and_saveexec_b64 s[28:29], s[6:7]
	s_xor_b64 s[6:7], exec, s[28:29]
	s_cbranch_execz .LBB0_114
; %bb.113:                              ;   in Loop: Header=BB0_101 Depth=1
	v_ashrrev_i32_e32 v13, 31, v12
	v_lshlrev_b64 v[14:15], 4, v[12:13]
	v_mov_b32_e32 v9, s13
	v_add_co_u32_e32 v14, vcc, s12, v14
	v_addc_co_u32_e32 v15, vcc, v9, v15, vcc
	v_add_u32_e32 v13, 0x10000, v12
	global_store_dwordx4 v[14:15], v[0:3], off
	s_andn2_b64 s[30:31], s[30:31], exec
	v_mov_b32_e32 v9, v13
                                        ; implicit-def: $vgpr14_vgpr15
.LBB0_114:                              ;   in Loop: Header=BB0_101 Depth=1
	s_or_b64 exec, exec, s[6:7]
	s_and_b64 s[6:7], s[30:31], exec
	s_andn2_saveexec_b64 s[8:9], s[8:9]
	s_cbranch_execz .LBB0_103
.LBB0_115:                              ;   in Loop: Header=BB0_101 Depth=1
	s_or_b64 s[6:7], s[6:7], exec
                                        ; implicit-def: $vgpr13
                                        ; implicit-def: $vgpr9
	s_or_b64 exec, exec, s[8:9]
	s_and_saveexec_b64 s[28:29], s[6:7]
	s_cbranch_execz .LBB0_100
.LBB0_116:                              ;   in Loop: Header=BB0_101 Depth=1
	v_add_f64 v[20:21], v[14:15], -1.0
	v_mul_f64 v[18:19], v[20:21], v[20:21]
	v_cmp_o_f64_e32 vcc, v[20:21], v[20:21]
	v_add_f64 v[20:21], v[0:1], v[0:1]
	v_add_f64 v[24:25], v[2:3], v[2:3]
	v_min_f64 v[26:27], v[20:21], v[24:25]
	v_max_f64 v[24:25], v[20:21], v[24:25]
	v_add_f64 v[20:21], v[10:11], v[26:27]
	v_add_f64 v[24:25], v[10:11], v[24:25]
	v_cndmask_b32_e32 v23, 0, v19, vcc
	v_cndmask_b32_e32 v22, 0, v18, vcc
	v_cmp_ge_f64_e32 vcc, 0, v[20:21]
	v_cmp_le_f64_e64 s[6:7], 0, v[24:25]
	v_fmac_f64_e32 v[22:23], v[4:5], v[14:15]
	v_fmac_f64_e32 v[18:19], v[4:5], v[14:15]
	s_and_b64 s[6:7], vcc, s[6:7]
                                        ; implicit-def: $sgpr8_sgpr9
                                        ; implicit-def: $vgpr28_vgpr29
                                        ; implicit-def: $vgpr26_vgpr27
	s_and_saveexec_b64 s[30:31], s[6:7]
	s_xor_b64 s[30:31], exec, s[30:31]
	s_cbranch_execz .LBB0_152
; %bb.117:                              ;   in Loop: Header=BB0_101 Depth=1
	v_cmp_eq_f64_e64 s[8:9], 0, v[20:21]
	v_cmp_neq_f64_e32 vcc, 0, v[24:25]
	v_cmp_eq_f64_e64 s[6:7], 0, v[24:25]
                                        ; implicit-def: $vgpr28_vgpr29
                                        ; implicit-def: $vgpr26_vgpr27
                                        ; implicit-def: $sgpr34_sgpr35
	s_and_saveexec_b64 s[36:37], s[8:9]
	s_xor_b64 s[36:37], exec, s[36:37]
	s_cbranch_execz .LBB0_129
; %bb.118:                              ;   in Loop: Header=BB0_101 Depth=1
	s_mov_b32 s8, 0
	s_mov_b32 s9, 0x7ff80000
	v_pk_mov_b32 v[28:29], s[8:9], s[8:9] op_sel:[0,1]
	v_pk_mov_b32 v[26:27], s[8:9], s[8:9] op_sel:[0,1]
	s_and_saveexec_b64 s[34:35], vcc
	s_cbranch_execz .LBB0_128
; %bb.119:                              ;   in Loop: Header=BB0_101 Depth=1
	v_cmp_neq_f64_e32 vcc, 0, v[22:23]
	v_cmp_neq_f64_e64 s[8:9], 0, v[18:19]
	s_or_b64 s[38:39], s[8:9], vcc
	v_pk_mov_b32 v[28:29], v[22:23], v[22:23] op_sel:[0,1]
	v_pk_mov_b32 v[26:27], v[18:19], v[18:19] op_sel:[0,1]
	s_and_saveexec_b64 s[8:9], s[38:39]
	s_cbranch_execz .LBB0_127
; %bb.120:                              ;   in Loop: Header=BB0_101 Depth=1
	v_cmp_ngt_f64_e32 vcc, 0, v[18:19]
                                        ; implicit-def: $sgpr40_sgpr41
                                        ; implicit-def: $vgpr28_vgpr29
	s_and_saveexec_b64 s[38:39], vcc
	s_xor_b64 s[38:39], exec, s[38:39]
	s_cbranch_execz .LBB0_124
; %bb.121:                              ;   in Loop: Header=BB0_101 Depth=1
	v_mov_b32_e32 v28, 0
	v_cmp_ngt_f64_e32 vcc, 0, v[22:23]
	v_mov_b32_e32 v29, 0xfff00000
	s_and_saveexec_b64 s[40:41], vcc
; %bb.122:                              ;   in Loop: Header=BB0_101 Depth=1
	v_div_scale_f64 v[26:27], s[42:43], v[24:25], v[24:25], v[22:23]
	v_rcp_f64_e32 v[28:29], v[26:27]
	v_div_scale_f64 v[30:31], vcc, v[22:23], v[24:25], v[22:23]
	v_fma_f64 v[32:33], -v[26:27], v[28:29], 1.0
	v_fmac_f64_e32 v[28:29], v[28:29], v[32:33]
	v_fma_f64 v[32:33], -v[26:27], v[28:29], 1.0
	v_fmac_f64_e32 v[28:29], v[28:29], v[32:33]
	v_mul_f64 v[32:33], v[30:31], v[28:29]
	v_fma_f64 v[26:27], -v[26:27], v[32:33], v[30:31]
	v_div_fmas_f64 v[26:27], v[26:27], v[28:29], v[32:33]
	v_div_fixup_f64 v[28:29], v[26:27], v[24:25], v[22:23]
; %bb.123:                              ;   in Loop: Header=BB0_101 Depth=1
	s_or_b64 exec, exec, s[40:41]
	s_mov_b32 s40, 0
	s_mov_b32 s41, 0x7ff00000
.LBB0_124:                              ;   in Loop: Header=BB0_101 Depth=1
	s_or_saveexec_b64 s[38:39], s[38:39]
	v_pk_mov_b32 v[26:27], s[40:41], s[40:41] op_sel:[0,1]
	s_xor_b64 exec, exec, s[38:39]
	s_cbranch_execz .LBB0_126
; %bb.125:                              ;   in Loop: Header=BB0_101 Depth=1
	v_div_scale_f64 v[26:27], s[40:41], v[24:25], v[24:25], v[18:19]
	v_rcp_f64_e32 v[28:29], v[26:27]
	v_div_scale_f64 v[30:31], vcc, v[18:19], v[24:25], v[18:19]
	v_fma_f64 v[32:33], -v[26:27], v[28:29], 1.0
	v_fmac_f64_e32 v[28:29], v[28:29], v[32:33]
	v_fma_f64 v[32:33], -v[26:27], v[28:29], 1.0
	v_fmac_f64_e32 v[28:29], v[28:29], v[32:33]
	v_mul_f64 v[32:33], v[30:31], v[28:29]
	v_fma_f64 v[26:27], -v[26:27], v[32:33], v[30:31]
	v_div_fmas_f64 v[26:27], v[26:27], v[28:29], v[32:33]
	v_mov_b32_e32 v28, 0
	v_div_fixup_f64 v[26:27], v[26:27], v[24:25], v[18:19]
	v_mov_b32_e32 v29, 0xfff00000
.LBB0_126:                              ;   in Loop: Header=BB0_101 Depth=1
	s_or_b64 exec, exec, s[38:39]
.LBB0_127:                              ;   in Loop: Header=BB0_101 Depth=1
	s_or_b64 exec, exec, s[8:9]
.LBB0_128:                              ;   in Loop: Header=BB0_101 Depth=1
	s_or_b64 exec, exec, s[34:35]
	s_mov_b64 s[34:35], 0
.LBB0_129:                              ;   in Loop: Header=BB0_101 Depth=1
	s_andn2_saveexec_b64 s[36:37], s[36:37]
	s_cbranch_execz .LBB0_151
; %bb.130:                              ;   in Loop: Header=BB0_101 Depth=1
	v_cmp_neq_f64_e32 vcc, 0, v[22:23]
	v_cmp_neq_f64_e64 s[8:9], 0, v[18:19]
	s_or_b64 s[38:39], s[8:9], vcc
                                        ; implicit-def: $vgpr28_vgpr29
                                        ; implicit-def: $vgpr26_vgpr27
                                        ; implicit-def: $sgpr8_sgpr9
	s_and_saveexec_b64 s[40:41], s[6:7]
	s_xor_b64 s[6:7], exec, s[40:41]
	s_cbranch_execz .LBB0_140
; %bb.131:                              ;   in Loop: Header=BB0_101 Depth=1
	v_pk_mov_b32 v[28:29], v[22:23], v[22:23] op_sel:[0,1]
	v_pk_mov_b32 v[26:27], v[18:19], v[18:19] op_sel:[0,1]
	s_and_saveexec_b64 s[8:9], s[38:39]
	s_cbranch_execz .LBB0_139
; %bb.132:                              ;   in Loop: Header=BB0_101 Depth=1
	v_cmp_ngt_f64_e32 vcc, 0, v[18:19]
                                        ; implicit-def: $vgpr26_vgpr27
                                        ; implicit-def: $sgpr42_sgpr43
	s_and_saveexec_b64 s[40:41], vcc
	s_xor_b64 s[40:41], exec, s[40:41]
	s_cbranch_execz .LBB0_136
; %bb.133:                              ;   in Loop: Header=BB0_101 Depth=1
	v_mov_b32_e32 v26, 0
	v_cmp_ngt_f64_e32 vcc, 0, v[22:23]
	v_mov_b32_e32 v27, 0x7ff00000
	s_and_saveexec_b64 s[42:43], vcc
; %bb.134:                              ;   in Loop: Header=BB0_101 Depth=1
	v_div_scale_f64 v[26:27], s[44:45], v[20:21], v[20:21], v[22:23]
	v_rcp_f64_e32 v[28:29], v[26:27]
	v_div_scale_f64 v[30:31], vcc, v[22:23], v[20:21], v[22:23]
	v_fma_f64 v[32:33], -v[26:27], v[28:29], 1.0
	v_fmac_f64_e32 v[28:29], v[28:29], v[32:33]
	v_fma_f64 v[32:33], -v[26:27], v[28:29], 1.0
	v_fmac_f64_e32 v[28:29], v[28:29], v[32:33]
	v_mul_f64 v[32:33], v[30:31], v[28:29]
	v_fma_f64 v[26:27], -v[26:27], v[32:33], v[30:31]
	v_div_fmas_f64 v[26:27], v[26:27], v[28:29], v[32:33]
	v_div_fixup_f64 v[26:27], v[26:27], v[20:21], v[22:23]
; %bb.135:                              ;   in Loop: Header=BB0_101 Depth=1
	s_or_b64 exec, exec, s[42:43]
	s_mov_b32 s42, 0
	s_mov_b32 s43, 0xfff00000
.LBB0_136:                              ;   in Loop: Header=BB0_101 Depth=1
	s_or_saveexec_b64 s[40:41], s[40:41]
	v_pk_mov_b32 v[28:29], s[42:43], s[42:43] op_sel:[0,1]
	s_xor_b64 exec, exec, s[40:41]
	s_cbranch_execz .LBB0_138
; %bb.137:                              ;   in Loop: Header=BB0_101 Depth=1
	v_div_scale_f64 v[26:27], s[42:43], v[20:21], v[20:21], v[18:19]
	v_rcp_f64_e32 v[28:29], v[26:27]
	v_div_scale_f64 v[30:31], vcc, v[18:19], v[20:21], v[18:19]
	v_fma_f64 v[32:33], -v[26:27], v[28:29], 1.0
	v_fmac_f64_e32 v[28:29], v[28:29], v[32:33]
	v_fma_f64 v[32:33], -v[26:27], v[28:29], 1.0
	v_fmac_f64_e32 v[28:29], v[28:29], v[32:33]
	v_mul_f64 v[32:33], v[30:31], v[28:29]
	v_fma_f64 v[26:27], -v[26:27], v[32:33], v[30:31]
	v_div_fmas_f64 v[26:27], v[26:27], v[28:29], v[32:33]
	v_div_fixup_f64 v[28:29], v[26:27], v[20:21], v[18:19]
	v_mov_b32_e32 v26, 0
	v_mov_b32_e32 v27, 0x7ff00000
.LBB0_138:                              ;   in Loop: Header=BB0_101 Depth=1
	s_or_b64 exec, exec, s[40:41]
.LBB0_139:                              ;   in Loop: Header=BB0_101 Depth=1
	s_or_b64 exec, exec, s[8:9]
	s_mov_b64 s[8:9], 0
.LBB0_140:                              ;   in Loop: Header=BB0_101 Depth=1
	s_andn2_saveexec_b64 s[6:7], s[6:7]
	s_cbranch_execz .LBB0_150
; %bb.141:                              ;   in Loop: Header=BB0_101 Depth=1
	s_mov_b64 s[42:43], 0
	v_pk_mov_b32 v[28:29], v[22:23], v[22:23] op_sel:[0,1]
	v_pk_mov_b32 v[26:27], v[18:19], v[18:19] op_sel:[0,1]
	s_and_saveexec_b64 s[40:41], s[38:39]
	s_cbranch_execz .LBB0_149
; %bb.142:                              ;   in Loop: Header=BB0_101 Depth=1
	v_cmp_ngt_f64_e32 vcc, 0, v[18:19]
                                        ; implicit-def: $sgpr38_sgpr39
                                        ; implicit-def: $vgpr26_vgpr27
                                        ; implicit-def: $sgpr44_sgpr45
	s_and_saveexec_b64 s[42:43], vcc
	s_xor_b64 s[42:43], exec, s[42:43]
	s_cbranch_execz .LBB0_146
; %bb.143:                              ;   in Loop: Header=BB0_101 Depth=1
	v_mov_b32_e32 v26, 0
	v_cmp_ngt_f64_e32 vcc, 0, v[22:23]
	s_mov_b64 s[38:39], 0
	v_mov_b32_e32 v27, 0x7ff00000
	s_and_saveexec_b64 s[44:45], vcc
	s_cbranch_execz .LBB0_145
; %bb.144:                              ;   in Loop: Header=BB0_101 Depth=1
	v_div_scale_f64 v[26:27], s[46:47], v[20:21], v[20:21], v[22:23]
	v_rcp_f64_e32 v[28:29], v[26:27]
	s_mov_b64 s[38:39], exec
	v_fma_f64 v[30:31], -v[26:27], v[28:29], 1.0
	v_fmac_f64_e32 v[28:29], v[28:29], v[30:31]
	v_fma_f64 v[30:31], -v[26:27], v[28:29], 1.0
	v_fmac_f64_e32 v[28:29], v[28:29], v[30:31]
	v_div_scale_f64 v[30:31], vcc, v[22:23], v[20:21], v[22:23]
	v_mul_f64 v[32:33], v[30:31], v[28:29]
	v_fma_f64 v[26:27], -v[26:27], v[32:33], v[30:31]
	s_nop 1
	v_div_fmas_f64 v[26:27], v[26:27], v[28:29], v[32:33]
	v_div_fixup_f64 v[26:27], v[26:27], v[20:21], v[22:23]
.LBB0_145:                              ;   in Loop: Header=BB0_101 Depth=1
	s_or_b64 exec, exec, s[44:45]
	s_mov_b32 s44, 0
	s_mov_b32 s45, 0xfff00000
	s_and_b64 s[38:39], s[38:39], exec
.LBB0_146:                              ;   in Loop: Header=BB0_101 Depth=1
	s_or_saveexec_b64 s[42:43], s[42:43]
	v_pk_mov_b32 v[28:29], s[44:45], s[44:45] op_sel:[0,1]
	s_xor_b64 exec, exec, s[42:43]
	s_cbranch_execz .LBB0_148
; %bb.147:                              ;   in Loop: Header=BB0_101 Depth=1
	v_div_scale_f64 v[26:27], s[44:45], v[24:25], v[24:25], v[18:19]
	v_rcp_f64_e32 v[28:29], v[26:27]
	v_div_scale_f64 v[30:31], vcc, v[18:19], v[24:25], v[18:19]
	s_or_b64 s[38:39], s[38:39], exec
	v_fma_f64 v[32:33], -v[26:27], v[28:29], 1.0
	v_fmac_f64_e32 v[28:29], v[28:29], v[32:33]
	v_fma_f64 v[32:33], -v[26:27], v[28:29], 1.0
	v_fmac_f64_e32 v[28:29], v[28:29], v[32:33]
	v_mul_f64 v[32:33], v[30:31], v[28:29]
	v_fma_f64 v[26:27], -v[26:27], v[32:33], v[30:31]
	v_div_fmas_f64 v[26:27], v[26:27], v[28:29], v[32:33]
	v_mov_b32_e32 v28, 0
	v_div_fixup_f64 v[26:27], v[26:27], v[24:25], v[18:19]
	v_mov_b32_e32 v29, 0xfff00000
.LBB0_148:                              ;   in Loop: Header=BB0_101 Depth=1
	s_or_b64 exec, exec, s[42:43]
	s_and_b64 s[42:43], s[38:39], exec
.LBB0_149:                              ;   in Loop: Header=BB0_101 Depth=1
	s_or_b64 exec, exec, s[40:41]
	s_andn2_b64 s[8:9], s[8:9], exec
	s_and_b64 s[38:39], s[42:43], exec
	s_or_b64 s[8:9], s[8:9], s[38:39]
.LBB0_150:                              ;   in Loop: Header=BB0_101 Depth=1
	s_or_b64 exec, exec, s[6:7]
	s_andn2_b64 s[6:7], s[34:35], exec
	s_and_b64 s[8:9], s[8:9], exec
	s_or_b64 s[34:35], s[6:7], s[8:9]
.LBB0_151:                              ;   in Loop: Header=BB0_101 Depth=1
	s_or_b64 exec, exec, s[36:37]
	s_and_b64 s[8:9], s[34:35], exec
.LBB0_152:                              ;   in Loop: Header=BB0_101 Depth=1
	s_andn2_saveexec_b64 s[30:31], s[30:31]
	s_cbranch_execz .LBB0_158
; %bb.153:                              ;   in Loop: Header=BB0_101 Depth=1
	v_cmp_gt_f64_e32 vcc, 0, v[24:25]
	v_cmp_ngt_f64_e64 s[6:7], 0, v[18:19]
	v_pk_mov_b32 v[26:27], v[24:25], v[24:25] op_sel:[0,1]
	v_pk_mov_b32 v[28:29], v[20:21], v[20:21] op_sel:[0,1]
	s_and_saveexec_b64 s[34:35], s[6:7]
	s_cbranch_execz .LBB0_157
; %bb.154:                              ;   in Loop: Header=BB0_101 Depth=1
	v_cmp_gt_f64_e64 s[6:7], 0, v[22:23]
	v_pk_mov_b32 v[28:29], v[24:25], v[24:25] op_sel:[0,1]
	v_pk_mov_b32 v[26:27], v[20:21], v[20:21] op_sel:[0,1]
	s_and_saveexec_b64 s[36:37], s[6:7]
; %bb.155:                              ;   in Loop: Header=BB0_101 Depth=1
	v_cndmask_b32_e32 v29, v21, v25, vcc
	v_cndmask_b32_e32 v28, v20, v24, vcc
	v_pk_mov_b32 v[26:27], v[28:29], v[28:29] op_sel:[0,1]
; %bb.156:                              ;   in Loop: Header=BB0_101 Depth=1
	s_or_b64 exec, exec, s[36:37]
.LBB0_157:                              ;   in Loop: Header=BB0_101 Depth=1
	s_or_b64 exec, exec, s[34:35]
	v_cndmask_b32_e32 v31, v23, v19, vcc
	v_cndmask_b32_e32 v30, v22, v18, vcc
	v_div_scale_f64 v[32:33], s[6:7], v[28:29], v[28:29], v[30:31]
	v_rcp_f64_e32 v[42:43], v[32:33]
	v_cndmask_b32_e32 v45, v19, v23, vcc
	v_cndmask_b32_e32 v44, v18, v22, vcc
	s_andn2_b64 s[8:9], s[8:9], exec
	v_fma_f64 v[46:47], -v[32:33], v[42:43], 1.0
	v_fmac_f64_e32 v[42:43], v[42:43], v[46:47]
	v_fma_f64 v[46:47], -v[32:33], v[42:43], 1.0
	v_fmac_f64_e32 v[42:43], v[42:43], v[46:47]
	v_div_scale_f64 v[46:47], vcc, v[30:31], v[28:29], v[30:31]
	v_mul_f64 v[48:49], v[46:47], v[42:43]
	v_fma_f64 v[32:33], -v[32:33], v[48:49], v[46:47]
	v_div_scale_f64 v[46:47], s[6:7], v[26:27], v[26:27], v[44:45]
	v_rcp_f64_e32 v[50:51], v[46:47]
	v_div_fmas_f64 v[32:33], v[32:33], v[42:43], v[48:49]
	v_div_fixup_f64 v[28:29], v[32:33], v[28:29], v[30:31]
	v_fma_f64 v[30:31], -v[46:47], v[50:51], 1.0
	v_fmac_f64_e32 v[50:51], v[50:51], v[30:31]
	v_fma_f64 v[30:31], -v[46:47], v[50:51], 1.0
	v_fmac_f64_e32 v[50:51], v[50:51], v[30:31]
	v_div_scale_f64 v[30:31], vcc, v[44:45], v[26:27], v[44:45]
	v_mul_f64 v[32:33], v[30:31], v[50:51]
	v_fma_f64 v[30:31], -v[46:47], v[32:33], v[30:31]
	s_nop 1
	v_div_fmas_f64 v[30:31], v[30:31], v[50:51], v[32:33]
	v_div_fixup_f64 v[26:27], v[30:31], v[26:27], v[44:45]
.LBB0_158:                              ;   in Loop: Header=BB0_101 Depth=1
	s_or_b64 exec, exec, s[30:31]
	v_pk_mov_b32 v[32:33], s[26:27], s[26:27] op_sel:[0,1]
	v_pk_mov_b32 v[30:31], v[32:33], v[32:33] op_sel:[0,1]
	s_and_saveexec_b64 s[6:7], s[8:9]
	s_cbranch_execz .LBB0_164
; %bb.159:                              ;   in Loop: Header=BB0_101 Depth=1
	v_cmp_ngt_f64_e32 vcc, 0, v[18:19]
                                        ; implicit-def: $vgpr30_vgpr31
	s_and_saveexec_b64 s[30:31], vcc
	s_xor_b64 s[30:31], exec, s[30:31]
; %bb.160:                              ;   in Loop: Header=BB0_101 Depth=1
	v_div_scale_f64 v[18:19], s[34:35], v[24:25], v[24:25], v[22:23]
	v_rcp_f64_e32 v[20:21], v[18:19]
	v_div_scale_f64 v[30:31], vcc, v[22:23], v[24:25], v[22:23]
	v_fma_f64 v[32:33], -v[18:19], v[20:21], 1.0
	v_fmac_f64_e32 v[20:21], v[20:21], v[32:33]
	v_fma_f64 v[32:33], -v[18:19], v[20:21], 1.0
	v_fmac_f64_e32 v[20:21], v[20:21], v[32:33]
	v_mul_f64 v[32:33], v[30:31], v[20:21]
	v_fma_f64 v[18:19], -v[18:19], v[32:33], v[30:31]
	v_div_fmas_f64 v[18:19], v[18:19], v[20:21], v[32:33]
	v_div_fixup_f64 v[30:31], v[18:19], v[24:25], v[22:23]
                                        ; implicit-def: $vgpr20_vgpr21
                                        ; implicit-def: $vgpr18_vgpr19
; %bb.161:                              ;   in Loop: Header=BB0_101 Depth=1
	s_andn2_saveexec_b64 s[30:31], s[30:31]
; %bb.162:                              ;   in Loop: Header=BB0_101 Depth=1
	v_div_scale_f64 v[22:23], s[34:35], v[20:21], v[20:21], v[18:19]
	v_rcp_f64_e32 v[24:25], v[22:23]
	v_div_scale_f64 v[30:31], vcc, v[18:19], v[20:21], v[18:19]
	v_fma_f64 v[32:33], -v[22:23], v[24:25], 1.0
	v_fmac_f64_e32 v[24:25], v[24:25], v[32:33]
	v_fma_f64 v[32:33], -v[22:23], v[24:25], 1.0
	v_fmac_f64_e32 v[24:25], v[24:25], v[32:33]
	v_mul_f64 v[32:33], v[30:31], v[24:25]
	v_fma_f64 v[22:23], -v[22:23], v[32:33], v[30:31]
	v_div_fmas_f64 v[22:23], v[22:23], v[24:25], v[32:33]
	v_div_fixup_f64 v[30:31], v[22:23], v[20:21], v[18:19]
; %bb.163:                              ;   in Loop: Header=BB0_101 Depth=1
	s_or_b64 exec, exec, s[30:31]
	v_add_f64 v[18:19], v[14:15], s[22:23]
	v_max_f64 v[22:23], v[0:1], v[0:1]
	v_add_f64 v[20:21], v[14:15], -v[30:31]
	v_max_f64 v[18:19], v[18:19], v[22:23]
	v_max_f64 v[22:23], v[2:3], v[2:3]
	v_min_f64 v[20:21], v[20:21], v[22:23]
	v_cmp_nle_f64_e32 vcc, v[18:19], v[20:21]
	v_cndmask_b32_e32 v31, v19, v36, vcc
	v_cndmask_b32_e64 v30, v18, 0, vcc
	v_cndmask_b32_e32 v33, v21, v36, vcc
	v_cndmask_b32_e64 v32, v20, 0, vcc
.LBB0_164:                              ;   in Loop: Header=BB0_101 Depth=1
	s_or_b64 exec, exec, s[6:7]
	v_add_f64 v[18:19], v[14:15], -v[26:27]
	v_max_f64 v[22:23], v[0:1], v[0:1]
	v_add_f64 v[20:21], v[14:15], -v[28:29]
	v_max_f64 v[18:19], v[18:19], v[22:23]
	v_max_f64 v[22:23], v[2:3], v[2:3]
	v_min_f64 v[20:21], v[20:21], v[22:23]
	v_cmp_nle_f64_e32 vcc, v[18:19], v[20:21]
	v_cndmask_b32_e32 v19, v19, v36, vcc
	v_cndmask_b32_e64 v18, v18, 0, vcc
	v_cndmask_b32_e32 v21, v21, v36, vcc
	v_cndmask_b32_e64 v20, v20, 0, vcc
	v_mul_f64 v[16:17], v[16:17], s[24:25]
	v_cndmask_b32_e64 v23, v17, 0, s[4:5]
	v_cndmask_b32_e64 v22, v16, 0, s[4:5]
	v_add_f64 v[16:17], v[18:19], v[20:21]
	v_add_f64 v[24:25], v[20:21], -v[18:19]
	v_cmp_o_f64_e32 vcc, v[16:17], v[16:17]
	v_cmp_gt_f64_e64 s[4:5], v[24:25], v[22:23]
	s_and_b64 s[6:7], vcc, s[4:5]
	s_xor_b64 s[34:35], s[6:7], -1
                                        ; implicit-def: $sgpr4_sgpr5
	s_and_saveexec_b64 s[30:31], s[34:35]
	s_cbranch_execnz .LBB0_170
; %bb.165:                              ;   in Loop: Header=BB0_101 Depth=1
	s_or_b64 exec, exec, s[30:31]
	s_and_saveexec_b64 s[8:9], s[6:7]
	s_cbranch_execnz .LBB0_171
.LBB0_166:                              ;   in Loop: Header=BB0_101 Depth=1
	s_or_b64 exec, exec, s[8:9]
	v_cmp_o_f64_e32 vcc, v[16:17], v[16:17]
	s_and_saveexec_b64 s[6:7], vcc
	s_cbranch_execz .LBB0_168
.LBB0_167:                              ;   in Loop: Header=BB0_101 Depth=1
	v_mov_b32_e32 v39, v38
	buffer_store_dword v19, v40, s[0:3], 0 offen offset:4
	buffer_store_dword v18, v40, s[0:3], 0 offen
	buffer_store_dword v21, v40, s[0:3], 0 offen offset:12
	buffer_store_dword v20, v40, s[0:3], 0 offen offset:8
.LBB0_168:                              ;   in Loop: Header=BB0_101 Depth=1
	s_or_b64 exec, exec, s[6:7]
	v_add_f64 v[0:1], v[30:31], v[32:33]
	v_cmp_o_f64_e32 vcc, v[0:1], v[0:1]
	s_and_b64 s[6:7], vcc, s[4:5]
	s_and_saveexec_b64 s[4:5], s[6:7]
	s_cbranch_execz .LBB0_99
; %bb.169:                              ;   in Loop: Header=BB0_101 Depth=1
	v_add_u32_e32 v0, 1, v39
	v_lshl_add_u32 v1, v39, 4, v35
	v_mov_b32_e32 v39, v0
	buffer_store_dword v31, v1, s[0:3], 0 offen offset:4
	buffer_store_dword v30, v1, s[0:3], 0 offen
	buffer_store_dword v33, v1, s[0:3], 0 offen offset:12
	buffer_store_dword v32, v1, s[0:3], 0 offen offset:8
	s_branch .LBB0_99
.LBB0_170:                              ;   in Loop: Header=BB0_101 Depth=1
	v_add_f64 v[24:25], v[30:31], v[32:33]
	v_cmp_o_f64_e32 vcc, v[24:25], v[24:25]
	v_add_f64 v[24:25], v[32:33], -v[30:31]
	v_cmp_gt_f64_e64 s[4:5], v[24:25], v[22:23]
	s_and_b64 s[34:35], vcc, s[4:5]
	s_and_b64 s[4:5], s[8:9], exec
	s_andn2_b64 s[6:7], s[6:7], exec
	s_and_b64 s[8:9], s[34:35], exec
	s_or_b64 s[6:7], s[6:7], s[8:9]
	s_or_b64 exec, exec, s[30:31]
	s_and_saveexec_b64 s[8:9], s[6:7]
	s_cbranch_execz .LBB0_166
.LBB0_171:                              ;   in Loop: Header=BB0_101 Depth=1
	v_add_f64 v[16:17], v[0:1], v[14:15]
	s_or_b64 s[4:5], s[4:5], exec
	v_pk_mov_b32 v[30:31], v[14:15], v[14:15] op_sel:[0,1]
	v_pk_mov_b32 v[32:33], v[2:3], v[2:3] op_sel:[0,1]
	;; [unrolled: 1-line block ×4, first 2 shown]
	s_or_b64 exec, exec, s[8:9]
	v_cmp_o_f64_e32 vcc, v[16:17], v[16:17]
	s_and_saveexec_b64 s[6:7], vcc
	s_cbranch_execnz .LBB0_167
	s_branch .LBB0_168
.LBB0_172:
	s_or_b64 exec, exec, s[10:11]
	s_branch .LBB0_248
.LBB0_173:
	v_mov_b32_e32 v0, s17
	buffer_store_dword v0, off, s[0:3], 0 offset:4
	v_mov_b32_e32 v0, s16
	buffer_store_dword v0, off, s[0:3], 0
	v_mov_b32_e32 v0, s19
	s_mov_b32 s4, 0
	buffer_store_dword v0, off, s[0:3], 0 offset:12
	v_mov_b32_e32 v0, s18
	s_mov_b32 s5, 0xbef00000
	v_mov_b32_e32 v32, 0
	s_brev_b32 s16, 5
	s_mov_b32 s18, 0
	s_brev_b32 s20, 1
	s_mov_b32 s22, 0
	v_fma_f64 v[6:7], v[6:7], s[4:5], -2.0
	v_add_u32_e32 v33, 16, v32
	s_mov_b64 s[10:11], 0
	v_mov_b32_e32 v36, 0
	s_mov_b32 s17, 0x3eb0c6f7
	s_mov_b32 s19, 0xfff00000
	s_mov_b32 s21, 0x3fefae14
	s_mov_b32 s23, 0x7ff80000
	v_mov_b32_e32 v34, 0x7ff80000
	v_mov_b32_e32 v35, v8
	;; [unrolled: 1-line block ×3, first 2 shown]
	buffer_store_dword v0, off, s[0:3], 0 offset:8
	s_branch .LBB0_176
.LBB0_174:                              ;   in Loop: Header=BB0_176 Depth=1
	s_or_b64 exec, exec, s[4:5]
	v_mov_b32_e32 v11, v10
	v_mov_b32_e32 v9, v35
.LBB0_175:                              ;   in Loop: Header=BB0_176 Depth=1
	s_or_b64 exec, exec, s[24:25]
	v_cmp_eq_u32_e32 vcc, -1, v37
	s_or_b64 s[10:11], vcc, s[10:11]
	v_mov_b32_e32 v35, v9
	v_mov_b32_e32 v10, v11
	v_mov_b32_e32 v36, v37
	s_andn2_b64 exec, exec, s[10:11]
	s_cbranch_execz .LBB0_247
.LBB0_176:                              ; =>This Inner Loop Header: Depth=1
	v_lshl_add_u32 v38, v36, 4, v32
	buffer_load_dword v0, v38, s[0:3], 0 offen
	buffer_load_dword v1, v38, s[0:3], 0 offen offset:4
	buffer_load_dword v2, v38, s[0:3], 0 offen offset:8
	;; [unrolled: 1-line block ×3, first 2 shown]
	v_add_u32_e32 v37, -1, v36
	s_mov_b64 s[6:7], 0
                                        ; implicit-def: $vgpr11
                                        ; implicit-def: $vgpr9
	s_waitcnt vmcnt(0)
	v_add_f64 v[16:17], v[0:1], v[2:3]
	v_add_f64 v[14:15], v[2:3], -v[0:1]
	v_cmp_u_f64_e64 s[4:5], v[16:17], v[16:17]
	v_cmp_o_f64_e32 vcc, v[16:17], v[16:17]
	v_mul_f64 v[12:13], v[16:17], 0.5
	s_and_saveexec_b64 s[8:9], vcc
	s_xor_b64 s[8:9], exec, s[8:9]
	s_cbranch_execnz .LBB0_179
; %bb.177:                              ;   in Loop: Header=BB0_176 Depth=1
	s_andn2_saveexec_b64 s[8:9], s[8:9]
	s_cbranch_execnz .LBB0_190
.LBB0_178:                              ;   in Loop: Header=BB0_176 Depth=1
	s_or_b64 exec, exec, s[8:9]
	s_and_saveexec_b64 s[24:25], s[6:7]
	s_cbranch_execz .LBB0_175
	s_branch .LBB0_191
.LBB0_179:                              ;   in Loop: Header=BB0_176 Depth=1
	v_mul_f64 v[12:13], v[16:17], 0.5
	v_mul_f64 v[16:17], |v[12:13]|, s[16:17]
	v_cmp_nle_f64_e32 vcc, v[14:15], v[16:17]
	s_mov_b64 s[6:7], -1
	s_mov_b64 s[26:27], 0
	s_and_saveexec_b64 s[24:25], vcc
	s_cbranch_execz .LBB0_187
; %bb.180:                              ;   in Loop: Header=BB0_176 Depth=1
	v_add_f64 v[22:23], v[0:1], -1.0
	v_add_f64 v[20:21], v[2:3], -1.0
	v_cmp_le_f64_e32 vcc, 0, v[22:23]
	v_mul_f64 v[16:17], v[22:23], v[22:23]
	v_mul_f64 v[18:19], v[20:21], v[20:21]
	s_and_saveexec_b64 s[6:7], vcc
	s_xor_b64 s[6:7], exec, s[6:7]
; %bb.181:                              ;   in Loop: Header=BB0_176 Depth=1
	v_mul_f64 v[18:19], v[22:23], v[22:23]
	v_mul_f64 v[16:17], v[20:21], v[20:21]
                                        ; implicit-def: $vgpr20_vgpr21
; %bb.182:                              ;   in Loop: Header=BB0_176 Depth=1
	s_andn2_saveexec_b64 s[6:7], s[6:7]
	s_cbranch_execz .LBB0_186
; %bb.183:                              ;   in Loop: Header=BB0_176 Depth=1
	v_cmp_ge_f64_e32 vcc, 0, v[20:21]
	s_and_saveexec_b64 s[26:27], vcc
	s_xor_b64 s[26:27], exec, s[26:27]
	s_andn2_saveexec_b64 s[26:27], s[26:27]
; %bb.184:                              ;   in Loop: Header=BB0_176 Depth=1
	v_max_f64 v[16:17], v[16:17], v[18:19]
	v_pk_mov_b32 v[18:19], 0, 0
; %bb.185:                              ;   in Loop: Header=BB0_176 Depth=1
	s_or_b64 exec, exec, s[26:27]
.LBB0_186:                              ;   in Loop: Header=BB0_176 Depth=1
	s_or_b64 exec, exec, s[6:7]
	v_mul_f64 v[20:21], v[4:5], v[0:1]
	v_mul_f64 v[22:23], v[4:5], v[2:3]
	v_min_f64 v[24:25], v[20:21], v[22:23]
	v_max_f64 v[20:21], v[20:21], v[22:23]
	v_add_f64 v[18:19], v[24:25], v[18:19]
	v_add_f64 v[16:17], v[20:21], v[16:17]
	;; [unrolled: 1-line block ×3, first 2 shown]
	v_add_f64 v[16:17], v[16:17], -v[18:19]
	v_cmp_u_f64_e32 vcc, v[20:21], v[20:21]
	v_cmp_ge_f64_e64 s[6:7], s[16:17], v[16:17]
	s_or_b64 s[6:7], vcc, s[6:7]
	s_mov_b64 s[26:27], exec
	s_orn2_b64 s[6:7], s[6:7], exec
.LBB0_187:                              ;   in Loop: Header=BB0_176 Depth=1
	s_or_b64 exec, exec, s[24:25]
                                        ; implicit-def: $vgpr11
                                        ; implicit-def: $vgpr9
	s_and_saveexec_b64 s[24:25], s[6:7]
	s_xor_b64 s[6:7], exec, s[24:25]
	s_cbranch_execz .LBB0_189
; %bb.188:                              ;   in Loop: Header=BB0_176 Depth=1
	v_ashrrev_i32_e32 v11, 31, v10
	v_lshlrev_b64 v[12:13], 4, v[10:11]
	v_mov_b32_e32 v9, s13
	v_add_co_u32_e32 v12, vcc, s12, v12
	v_addc_co_u32_e32 v13, vcc, v9, v13, vcc
	v_add_u32_e32 v11, 0x10000, v10
	global_store_dwordx4 v[12:13], v[0:3], off
	s_andn2_b64 s[26:27], s[26:27], exec
	v_mov_b32_e32 v9, v11
                                        ; implicit-def: $vgpr12_vgpr13
.LBB0_189:                              ;   in Loop: Header=BB0_176 Depth=1
	s_or_b64 exec, exec, s[6:7]
	s_and_b64 s[6:7], s[26:27], exec
	s_andn2_saveexec_b64 s[8:9], s[8:9]
	s_cbranch_execz .LBB0_178
.LBB0_190:                              ;   in Loop: Header=BB0_176 Depth=1
	s_or_b64 s[6:7], s[6:7], exec
                                        ; implicit-def: $vgpr11
                                        ; implicit-def: $vgpr9
	s_or_b64 exec, exec, s[8:9]
	s_and_saveexec_b64 s[24:25], s[6:7]
	s_cbranch_execz .LBB0_175
.LBB0_191:                              ;   in Loop: Header=BB0_176 Depth=1
	v_add_f64 v[18:19], v[12:13], -1.0
	v_mul_f64 v[16:17], v[18:19], v[18:19]
	v_cmp_o_f64_e32 vcc, v[18:19], v[18:19]
	v_add_f64 v[18:19], v[0:1], v[0:1]
	v_add_f64 v[22:23], v[2:3], v[2:3]
	v_min_f64 v[24:25], v[18:19], v[22:23]
	v_max_f64 v[22:23], v[18:19], v[22:23]
	v_add_f64 v[18:19], v[6:7], v[24:25]
	v_add_f64 v[22:23], v[6:7], v[22:23]
	v_cndmask_b32_e32 v21, 0, v17, vcc
	v_cndmask_b32_e32 v20, 0, v16, vcc
	v_cmp_ge_f64_e32 vcc, 0, v[18:19]
	v_cmp_le_f64_e64 s[6:7], 0, v[22:23]
	v_fmac_f64_e32 v[20:21], v[4:5], v[12:13]
	v_fmac_f64_e32 v[16:17], v[4:5], v[12:13]
	s_and_b64 s[6:7], vcc, s[6:7]
                                        ; implicit-def: $sgpr8_sgpr9
                                        ; implicit-def: $vgpr26_vgpr27
                                        ; implicit-def: $vgpr24_vgpr25
	s_and_saveexec_b64 s[26:27], s[6:7]
	s_xor_b64 s[26:27], exec, s[26:27]
	s_cbranch_execz .LBB0_227
; %bb.192:                              ;   in Loop: Header=BB0_176 Depth=1
	v_cmp_eq_f64_e64 s[8:9], 0, v[18:19]
	v_cmp_neq_f64_e32 vcc, 0, v[22:23]
	v_cmp_eq_f64_e64 s[6:7], 0, v[22:23]
                                        ; implicit-def: $vgpr26_vgpr27
                                        ; implicit-def: $vgpr24_vgpr25
                                        ; implicit-def: $sgpr28_sgpr29
	s_and_saveexec_b64 s[30:31], s[8:9]
	s_xor_b64 s[30:31], exec, s[30:31]
	s_cbranch_execz .LBB0_204
; %bb.193:                              ;   in Loop: Header=BB0_176 Depth=1
	s_mov_b32 s8, 0
	s_mov_b32 s9, 0x7ff80000
	v_pk_mov_b32 v[26:27], s[8:9], s[8:9] op_sel:[0,1]
	v_pk_mov_b32 v[24:25], s[8:9], s[8:9] op_sel:[0,1]
	s_and_saveexec_b64 s[28:29], vcc
	s_cbranch_execz .LBB0_203
; %bb.194:                              ;   in Loop: Header=BB0_176 Depth=1
	v_cmp_neq_f64_e32 vcc, 0, v[20:21]
	v_cmp_neq_f64_e64 s[8:9], 0, v[16:17]
	s_or_b64 s[34:35], s[8:9], vcc
	v_pk_mov_b32 v[26:27], v[20:21], v[20:21] op_sel:[0,1]
	v_pk_mov_b32 v[24:25], v[16:17], v[16:17] op_sel:[0,1]
	s_and_saveexec_b64 s[8:9], s[34:35]
	s_cbranch_execz .LBB0_202
; %bb.195:                              ;   in Loop: Header=BB0_176 Depth=1
	v_cmp_ngt_f64_e32 vcc, 0, v[16:17]
                                        ; implicit-def: $sgpr36_sgpr37
                                        ; implicit-def: $vgpr26_vgpr27
	s_and_saveexec_b64 s[34:35], vcc
	s_xor_b64 s[34:35], exec, s[34:35]
	s_cbranch_execz .LBB0_199
; %bb.196:                              ;   in Loop: Header=BB0_176 Depth=1
	v_mov_b32_e32 v26, 0
	v_cmp_ngt_f64_e32 vcc, 0, v[20:21]
	v_mov_b32_e32 v27, 0xfff00000
	s_and_saveexec_b64 s[36:37], vcc
; %bb.197:                              ;   in Loop: Header=BB0_176 Depth=1
	v_div_scale_f64 v[24:25], s[38:39], v[22:23], v[22:23], v[20:21]
	v_rcp_f64_e32 v[26:27], v[24:25]
	v_div_scale_f64 v[28:29], vcc, v[20:21], v[22:23], v[20:21]
	v_fma_f64 v[30:31], -v[24:25], v[26:27], 1.0
	v_fmac_f64_e32 v[26:27], v[26:27], v[30:31]
	v_fma_f64 v[30:31], -v[24:25], v[26:27], 1.0
	v_fmac_f64_e32 v[26:27], v[26:27], v[30:31]
	v_mul_f64 v[30:31], v[28:29], v[26:27]
	v_fma_f64 v[24:25], -v[24:25], v[30:31], v[28:29]
	v_div_fmas_f64 v[24:25], v[24:25], v[26:27], v[30:31]
	v_div_fixup_f64 v[26:27], v[24:25], v[22:23], v[20:21]
; %bb.198:                              ;   in Loop: Header=BB0_176 Depth=1
	s_or_b64 exec, exec, s[36:37]
	s_mov_b32 s36, 0
	s_mov_b32 s37, 0x7ff00000
.LBB0_199:                              ;   in Loop: Header=BB0_176 Depth=1
	s_or_saveexec_b64 s[34:35], s[34:35]
	v_pk_mov_b32 v[24:25], s[36:37], s[36:37] op_sel:[0,1]
	s_xor_b64 exec, exec, s[34:35]
	s_cbranch_execz .LBB0_201
; %bb.200:                              ;   in Loop: Header=BB0_176 Depth=1
	v_div_scale_f64 v[24:25], s[36:37], v[22:23], v[22:23], v[16:17]
	v_rcp_f64_e32 v[26:27], v[24:25]
	v_div_scale_f64 v[28:29], vcc, v[16:17], v[22:23], v[16:17]
	v_fma_f64 v[30:31], -v[24:25], v[26:27], 1.0
	v_fmac_f64_e32 v[26:27], v[26:27], v[30:31]
	v_fma_f64 v[30:31], -v[24:25], v[26:27], 1.0
	v_fmac_f64_e32 v[26:27], v[26:27], v[30:31]
	v_mul_f64 v[30:31], v[28:29], v[26:27]
	v_fma_f64 v[24:25], -v[24:25], v[30:31], v[28:29]
	v_div_fmas_f64 v[24:25], v[24:25], v[26:27], v[30:31]
	v_mov_b32_e32 v26, 0
	v_div_fixup_f64 v[24:25], v[24:25], v[22:23], v[16:17]
	v_mov_b32_e32 v27, 0xfff00000
.LBB0_201:                              ;   in Loop: Header=BB0_176 Depth=1
	s_or_b64 exec, exec, s[34:35]
.LBB0_202:                              ;   in Loop: Header=BB0_176 Depth=1
	s_or_b64 exec, exec, s[8:9]
.LBB0_203:                              ;   in Loop: Header=BB0_176 Depth=1
	s_or_b64 exec, exec, s[28:29]
	s_mov_b64 s[28:29], 0
.LBB0_204:                              ;   in Loop: Header=BB0_176 Depth=1
	s_andn2_saveexec_b64 s[30:31], s[30:31]
	s_cbranch_execz .LBB0_226
; %bb.205:                              ;   in Loop: Header=BB0_176 Depth=1
	v_cmp_neq_f64_e32 vcc, 0, v[20:21]
	v_cmp_neq_f64_e64 s[8:9], 0, v[16:17]
	s_or_b64 s[34:35], s[8:9], vcc
                                        ; implicit-def: $vgpr26_vgpr27
                                        ; implicit-def: $vgpr24_vgpr25
                                        ; implicit-def: $sgpr8_sgpr9
	s_and_saveexec_b64 s[36:37], s[6:7]
	s_xor_b64 s[6:7], exec, s[36:37]
	s_cbranch_execz .LBB0_215
; %bb.206:                              ;   in Loop: Header=BB0_176 Depth=1
	v_pk_mov_b32 v[26:27], v[20:21], v[20:21] op_sel:[0,1]
	v_pk_mov_b32 v[24:25], v[16:17], v[16:17] op_sel:[0,1]
	s_and_saveexec_b64 s[8:9], s[34:35]
	s_cbranch_execz .LBB0_214
; %bb.207:                              ;   in Loop: Header=BB0_176 Depth=1
	v_cmp_ngt_f64_e32 vcc, 0, v[16:17]
                                        ; implicit-def: $vgpr24_vgpr25
                                        ; implicit-def: $sgpr38_sgpr39
	s_and_saveexec_b64 s[36:37], vcc
	s_xor_b64 s[36:37], exec, s[36:37]
	s_cbranch_execz .LBB0_211
; %bb.208:                              ;   in Loop: Header=BB0_176 Depth=1
	v_mov_b32_e32 v24, 0
	v_cmp_ngt_f64_e32 vcc, 0, v[20:21]
	v_mov_b32_e32 v25, 0x7ff00000
	s_and_saveexec_b64 s[38:39], vcc
; %bb.209:                              ;   in Loop: Header=BB0_176 Depth=1
	v_div_scale_f64 v[24:25], s[40:41], v[18:19], v[18:19], v[20:21]
	v_rcp_f64_e32 v[26:27], v[24:25]
	v_div_scale_f64 v[28:29], vcc, v[20:21], v[18:19], v[20:21]
	v_fma_f64 v[30:31], -v[24:25], v[26:27], 1.0
	v_fmac_f64_e32 v[26:27], v[26:27], v[30:31]
	v_fma_f64 v[30:31], -v[24:25], v[26:27], 1.0
	v_fmac_f64_e32 v[26:27], v[26:27], v[30:31]
	v_mul_f64 v[30:31], v[28:29], v[26:27]
	v_fma_f64 v[24:25], -v[24:25], v[30:31], v[28:29]
	v_div_fmas_f64 v[24:25], v[24:25], v[26:27], v[30:31]
	v_div_fixup_f64 v[24:25], v[24:25], v[18:19], v[20:21]
; %bb.210:                              ;   in Loop: Header=BB0_176 Depth=1
	s_or_b64 exec, exec, s[38:39]
	s_mov_b32 s38, 0
	s_mov_b32 s39, 0xfff00000
.LBB0_211:                              ;   in Loop: Header=BB0_176 Depth=1
	s_or_saveexec_b64 s[36:37], s[36:37]
	v_pk_mov_b32 v[26:27], s[38:39], s[38:39] op_sel:[0,1]
	s_xor_b64 exec, exec, s[36:37]
	s_cbranch_execz .LBB0_213
; %bb.212:                              ;   in Loop: Header=BB0_176 Depth=1
	v_div_scale_f64 v[24:25], s[38:39], v[18:19], v[18:19], v[16:17]
	v_rcp_f64_e32 v[26:27], v[24:25]
	v_div_scale_f64 v[28:29], vcc, v[16:17], v[18:19], v[16:17]
	v_fma_f64 v[30:31], -v[24:25], v[26:27], 1.0
	v_fmac_f64_e32 v[26:27], v[26:27], v[30:31]
	v_fma_f64 v[30:31], -v[24:25], v[26:27], 1.0
	v_fmac_f64_e32 v[26:27], v[26:27], v[30:31]
	v_mul_f64 v[30:31], v[28:29], v[26:27]
	v_fma_f64 v[24:25], -v[24:25], v[30:31], v[28:29]
	v_div_fmas_f64 v[24:25], v[24:25], v[26:27], v[30:31]
	v_div_fixup_f64 v[26:27], v[24:25], v[18:19], v[16:17]
	v_mov_b32_e32 v24, 0
	v_mov_b32_e32 v25, 0x7ff00000
.LBB0_213:                              ;   in Loop: Header=BB0_176 Depth=1
	s_or_b64 exec, exec, s[36:37]
.LBB0_214:                              ;   in Loop: Header=BB0_176 Depth=1
	s_or_b64 exec, exec, s[8:9]
	s_mov_b64 s[8:9], 0
.LBB0_215:                              ;   in Loop: Header=BB0_176 Depth=1
	s_andn2_saveexec_b64 s[6:7], s[6:7]
	s_cbranch_execz .LBB0_225
; %bb.216:                              ;   in Loop: Header=BB0_176 Depth=1
	s_mov_b64 s[38:39], 0
	v_pk_mov_b32 v[26:27], v[20:21], v[20:21] op_sel:[0,1]
	v_pk_mov_b32 v[24:25], v[16:17], v[16:17] op_sel:[0,1]
	s_and_saveexec_b64 s[36:37], s[34:35]
	s_cbranch_execz .LBB0_224
; %bb.217:                              ;   in Loop: Header=BB0_176 Depth=1
	v_cmp_ngt_f64_e32 vcc, 0, v[16:17]
                                        ; implicit-def: $sgpr34_sgpr35
                                        ; implicit-def: $vgpr24_vgpr25
                                        ; implicit-def: $sgpr40_sgpr41
	s_and_saveexec_b64 s[38:39], vcc
	s_xor_b64 s[38:39], exec, s[38:39]
	s_cbranch_execz .LBB0_221
; %bb.218:                              ;   in Loop: Header=BB0_176 Depth=1
	v_mov_b32_e32 v24, 0
	v_cmp_ngt_f64_e32 vcc, 0, v[20:21]
	s_mov_b64 s[34:35], 0
	v_mov_b32_e32 v25, 0x7ff00000
	s_and_saveexec_b64 s[40:41], vcc
	s_cbranch_execz .LBB0_220
; %bb.219:                              ;   in Loop: Header=BB0_176 Depth=1
	v_div_scale_f64 v[24:25], s[42:43], v[18:19], v[18:19], v[20:21]
	v_rcp_f64_e32 v[26:27], v[24:25]
	s_mov_b64 s[34:35], exec
	v_fma_f64 v[28:29], -v[24:25], v[26:27], 1.0
	v_fmac_f64_e32 v[26:27], v[26:27], v[28:29]
	v_fma_f64 v[28:29], -v[24:25], v[26:27], 1.0
	v_fmac_f64_e32 v[26:27], v[26:27], v[28:29]
	v_div_scale_f64 v[28:29], vcc, v[20:21], v[18:19], v[20:21]
	v_mul_f64 v[30:31], v[28:29], v[26:27]
	v_fma_f64 v[24:25], -v[24:25], v[30:31], v[28:29]
	s_nop 1
	v_div_fmas_f64 v[24:25], v[24:25], v[26:27], v[30:31]
	v_div_fixup_f64 v[24:25], v[24:25], v[18:19], v[20:21]
.LBB0_220:                              ;   in Loop: Header=BB0_176 Depth=1
	s_or_b64 exec, exec, s[40:41]
	s_mov_b32 s40, 0
	s_mov_b32 s41, 0xfff00000
	s_and_b64 s[34:35], s[34:35], exec
.LBB0_221:                              ;   in Loop: Header=BB0_176 Depth=1
	s_or_saveexec_b64 s[38:39], s[38:39]
	v_pk_mov_b32 v[26:27], s[40:41], s[40:41] op_sel:[0,1]
	s_xor_b64 exec, exec, s[38:39]
	s_cbranch_execz .LBB0_223
; %bb.222:                              ;   in Loop: Header=BB0_176 Depth=1
	v_div_scale_f64 v[24:25], s[40:41], v[22:23], v[22:23], v[16:17]
	v_rcp_f64_e32 v[26:27], v[24:25]
	v_div_scale_f64 v[28:29], vcc, v[16:17], v[22:23], v[16:17]
	s_or_b64 s[34:35], s[34:35], exec
	v_fma_f64 v[30:31], -v[24:25], v[26:27], 1.0
	v_fmac_f64_e32 v[26:27], v[26:27], v[30:31]
	v_fma_f64 v[30:31], -v[24:25], v[26:27], 1.0
	v_fmac_f64_e32 v[26:27], v[26:27], v[30:31]
	v_mul_f64 v[30:31], v[28:29], v[26:27]
	v_fma_f64 v[24:25], -v[24:25], v[30:31], v[28:29]
	v_div_fmas_f64 v[24:25], v[24:25], v[26:27], v[30:31]
	v_mov_b32_e32 v26, 0
	v_div_fixup_f64 v[24:25], v[24:25], v[22:23], v[16:17]
	v_mov_b32_e32 v27, 0xfff00000
.LBB0_223:                              ;   in Loop: Header=BB0_176 Depth=1
	s_or_b64 exec, exec, s[38:39]
	s_and_b64 s[38:39], s[34:35], exec
.LBB0_224:                              ;   in Loop: Header=BB0_176 Depth=1
	s_or_b64 exec, exec, s[36:37]
	s_andn2_b64 s[8:9], s[8:9], exec
	s_and_b64 s[34:35], s[38:39], exec
	s_or_b64 s[8:9], s[8:9], s[34:35]
.LBB0_225:                              ;   in Loop: Header=BB0_176 Depth=1
	s_or_b64 exec, exec, s[6:7]
	s_andn2_b64 s[6:7], s[28:29], exec
	s_and_b64 s[8:9], s[8:9], exec
	s_or_b64 s[28:29], s[6:7], s[8:9]
.LBB0_226:                              ;   in Loop: Header=BB0_176 Depth=1
	s_or_b64 exec, exec, s[30:31]
	s_and_b64 s[8:9], s[28:29], exec
.LBB0_227:                              ;   in Loop: Header=BB0_176 Depth=1
	s_andn2_saveexec_b64 s[26:27], s[26:27]
	s_cbranch_execz .LBB0_233
; %bb.228:                              ;   in Loop: Header=BB0_176 Depth=1
	v_cmp_gt_f64_e32 vcc, 0, v[22:23]
	v_cmp_ngt_f64_e64 s[6:7], 0, v[16:17]
	v_pk_mov_b32 v[24:25], v[22:23], v[22:23] op_sel:[0,1]
	v_pk_mov_b32 v[26:27], v[18:19], v[18:19] op_sel:[0,1]
	s_and_saveexec_b64 s[28:29], s[6:7]
	s_cbranch_execz .LBB0_232
; %bb.229:                              ;   in Loop: Header=BB0_176 Depth=1
	v_cmp_gt_f64_e64 s[6:7], 0, v[20:21]
	v_pk_mov_b32 v[26:27], v[22:23], v[22:23] op_sel:[0,1]
	v_pk_mov_b32 v[24:25], v[18:19], v[18:19] op_sel:[0,1]
	s_and_saveexec_b64 s[30:31], s[6:7]
; %bb.230:                              ;   in Loop: Header=BB0_176 Depth=1
	v_cndmask_b32_e32 v27, v19, v23, vcc
	v_cndmask_b32_e32 v26, v18, v22, vcc
	v_pk_mov_b32 v[24:25], v[26:27], v[26:27] op_sel:[0,1]
; %bb.231:                              ;   in Loop: Header=BB0_176 Depth=1
	s_or_b64 exec, exec, s[30:31]
.LBB0_232:                              ;   in Loop: Header=BB0_176 Depth=1
	s_or_b64 exec, exec, s[28:29]
	v_cndmask_b32_e32 v29, v21, v17, vcc
	v_cndmask_b32_e32 v28, v20, v16, vcc
	v_div_scale_f64 v[30:31], s[6:7], v[26:27], v[26:27], v[28:29]
	v_rcp_f64_e32 v[40:41], v[30:31]
	v_cndmask_b32_e32 v43, v17, v21, vcc
	v_cndmask_b32_e32 v42, v16, v20, vcc
	s_andn2_b64 s[8:9], s[8:9], exec
	v_fma_f64 v[44:45], -v[30:31], v[40:41], 1.0
	v_fmac_f64_e32 v[40:41], v[40:41], v[44:45]
	v_fma_f64 v[44:45], -v[30:31], v[40:41], 1.0
	v_fmac_f64_e32 v[40:41], v[40:41], v[44:45]
	v_div_scale_f64 v[44:45], vcc, v[28:29], v[26:27], v[28:29]
	v_mul_f64 v[46:47], v[44:45], v[40:41]
	v_fma_f64 v[30:31], -v[30:31], v[46:47], v[44:45]
	v_div_scale_f64 v[44:45], s[6:7], v[24:25], v[24:25], v[42:43]
	v_rcp_f64_e32 v[48:49], v[44:45]
	v_div_fmas_f64 v[30:31], v[30:31], v[40:41], v[46:47]
	v_div_fixup_f64 v[26:27], v[30:31], v[26:27], v[28:29]
	v_fma_f64 v[28:29], -v[44:45], v[48:49], 1.0
	v_fmac_f64_e32 v[48:49], v[48:49], v[28:29]
	v_fma_f64 v[28:29], -v[44:45], v[48:49], 1.0
	v_fmac_f64_e32 v[48:49], v[48:49], v[28:29]
	v_div_scale_f64 v[28:29], vcc, v[42:43], v[24:25], v[42:43]
	v_mul_f64 v[30:31], v[28:29], v[48:49]
	v_fma_f64 v[28:29], -v[44:45], v[30:31], v[28:29]
	s_nop 1
	v_div_fmas_f64 v[28:29], v[28:29], v[48:49], v[30:31]
	v_div_fixup_f64 v[24:25], v[28:29], v[24:25], v[42:43]
.LBB0_233:                              ;   in Loop: Header=BB0_176 Depth=1
	s_or_b64 exec, exec, s[26:27]
	v_pk_mov_b32 v[30:31], s[22:23], s[22:23] op_sel:[0,1]
	v_pk_mov_b32 v[28:29], v[30:31], v[30:31] op_sel:[0,1]
	s_and_saveexec_b64 s[6:7], s[8:9]
	s_cbranch_execz .LBB0_239
; %bb.234:                              ;   in Loop: Header=BB0_176 Depth=1
	v_cmp_ngt_f64_e32 vcc, 0, v[16:17]
                                        ; implicit-def: $vgpr28_vgpr29
	s_and_saveexec_b64 s[26:27], vcc
	s_xor_b64 s[26:27], exec, s[26:27]
; %bb.235:                              ;   in Loop: Header=BB0_176 Depth=1
	v_div_scale_f64 v[16:17], s[28:29], v[22:23], v[22:23], v[20:21]
	v_rcp_f64_e32 v[18:19], v[16:17]
	v_div_scale_f64 v[28:29], vcc, v[20:21], v[22:23], v[20:21]
	v_fma_f64 v[30:31], -v[16:17], v[18:19], 1.0
	v_fmac_f64_e32 v[18:19], v[18:19], v[30:31]
	v_fma_f64 v[30:31], -v[16:17], v[18:19], 1.0
	v_fmac_f64_e32 v[18:19], v[18:19], v[30:31]
	v_mul_f64 v[30:31], v[28:29], v[18:19]
	v_fma_f64 v[16:17], -v[16:17], v[30:31], v[28:29]
	v_div_fmas_f64 v[16:17], v[16:17], v[18:19], v[30:31]
	v_div_fixup_f64 v[28:29], v[16:17], v[22:23], v[20:21]
                                        ; implicit-def: $vgpr18_vgpr19
                                        ; implicit-def: $vgpr16_vgpr17
; %bb.236:                              ;   in Loop: Header=BB0_176 Depth=1
	s_andn2_saveexec_b64 s[26:27], s[26:27]
; %bb.237:                              ;   in Loop: Header=BB0_176 Depth=1
	v_div_scale_f64 v[20:21], s[28:29], v[18:19], v[18:19], v[16:17]
	v_rcp_f64_e32 v[22:23], v[20:21]
	v_div_scale_f64 v[28:29], vcc, v[16:17], v[18:19], v[16:17]
	v_fma_f64 v[30:31], -v[20:21], v[22:23], 1.0
	v_fmac_f64_e32 v[22:23], v[22:23], v[30:31]
	v_fma_f64 v[30:31], -v[20:21], v[22:23], 1.0
	v_fmac_f64_e32 v[22:23], v[22:23], v[30:31]
	v_mul_f64 v[30:31], v[28:29], v[22:23]
	v_fma_f64 v[20:21], -v[20:21], v[30:31], v[28:29]
	v_div_fmas_f64 v[20:21], v[20:21], v[22:23], v[30:31]
	v_div_fixup_f64 v[28:29], v[20:21], v[18:19], v[16:17]
; %bb.238:                              ;   in Loop: Header=BB0_176 Depth=1
	s_or_b64 exec, exec, s[26:27]
	v_add_f64 v[16:17], v[12:13], s[18:19]
	v_max_f64 v[20:21], v[0:1], v[0:1]
	v_add_f64 v[18:19], v[12:13], -v[28:29]
	v_max_f64 v[16:17], v[16:17], v[20:21]
	v_max_f64 v[20:21], v[2:3], v[2:3]
	v_min_f64 v[18:19], v[18:19], v[20:21]
	v_cmp_nle_f64_e32 vcc, v[16:17], v[18:19]
	v_cndmask_b32_e32 v29, v17, v34, vcc
	v_cndmask_b32_e64 v28, v16, 0, vcc
	v_cndmask_b32_e32 v31, v19, v34, vcc
	v_cndmask_b32_e64 v30, v18, 0, vcc
.LBB0_239:                              ;   in Loop: Header=BB0_176 Depth=1
	s_or_b64 exec, exec, s[6:7]
	v_add_f64 v[16:17], v[12:13], -v[24:25]
	v_max_f64 v[20:21], v[0:1], v[0:1]
	v_add_f64 v[18:19], v[12:13], -v[26:27]
	v_max_f64 v[16:17], v[16:17], v[20:21]
	v_max_f64 v[20:21], v[2:3], v[2:3]
	v_min_f64 v[18:19], v[18:19], v[20:21]
	v_cmp_nle_f64_e32 vcc, v[16:17], v[18:19]
	v_cndmask_b32_e32 v17, v17, v34, vcc
	v_cndmask_b32_e64 v16, v16, 0, vcc
	v_cndmask_b32_e32 v19, v19, v34, vcc
	v_cndmask_b32_e64 v18, v18, 0, vcc
	v_mul_f64 v[14:15], v[14:15], s[20:21]
	v_cndmask_b32_e64 v21, v15, 0, s[4:5]
	v_cndmask_b32_e64 v20, v14, 0, s[4:5]
	v_add_f64 v[14:15], v[16:17], v[18:19]
	v_add_f64 v[22:23], v[18:19], -v[16:17]
	v_cmp_o_f64_e32 vcc, v[14:15], v[14:15]
	v_cmp_gt_f64_e64 s[4:5], v[22:23], v[20:21]
	s_and_b64 s[6:7], vcc, s[4:5]
	s_xor_b64 s[28:29], s[6:7], -1
                                        ; implicit-def: $sgpr4_sgpr5
	s_and_saveexec_b64 s[26:27], s[28:29]
	s_cbranch_execnz .LBB0_245
; %bb.240:                              ;   in Loop: Header=BB0_176 Depth=1
	s_or_b64 exec, exec, s[26:27]
	s_and_saveexec_b64 s[8:9], s[6:7]
	s_cbranch_execnz .LBB0_246
.LBB0_241:                              ;   in Loop: Header=BB0_176 Depth=1
	s_or_b64 exec, exec, s[8:9]
	v_cmp_o_f64_e32 vcc, v[14:15], v[14:15]
	s_and_saveexec_b64 s[6:7], vcc
	s_cbranch_execz .LBB0_243
.LBB0_242:                              ;   in Loop: Header=BB0_176 Depth=1
	v_mov_b32_e32 v37, v36
	buffer_store_dword v17, v38, s[0:3], 0 offen offset:4
	buffer_store_dword v16, v38, s[0:3], 0 offen
	buffer_store_dword v19, v38, s[0:3], 0 offen offset:12
	buffer_store_dword v18, v38, s[0:3], 0 offen offset:8
.LBB0_243:                              ;   in Loop: Header=BB0_176 Depth=1
	s_or_b64 exec, exec, s[6:7]
	v_add_f64 v[0:1], v[28:29], v[30:31]
	v_cmp_o_f64_e32 vcc, v[0:1], v[0:1]
	s_and_b64 s[6:7], vcc, s[4:5]
	s_and_saveexec_b64 s[4:5], s[6:7]
	s_cbranch_execz .LBB0_174
; %bb.244:                              ;   in Loop: Header=BB0_176 Depth=1
	v_add_u32_e32 v0, 1, v37
	v_lshl_add_u32 v1, v37, 4, v33
	v_mov_b32_e32 v37, v0
	buffer_store_dword v29, v1, s[0:3], 0 offen offset:4
	buffer_store_dword v28, v1, s[0:3], 0 offen
	buffer_store_dword v31, v1, s[0:3], 0 offen offset:12
	buffer_store_dword v30, v1, s[0:3], 0 offen offset:8
	s_branch .LBB0_174
.LBB0_245:                              ;   in Loop: Header=BB0_176 Depth=1
	v_add_f64 v[22:23], v[28:29], v[30:31]
	v_cmp_o_f64_e32 vcc, v[22:23], v[22:23]
	v_add_f64 v[22:23], v[30:31], -v[28:29]
	v_cmp_gt_f64_e64 s[4:5], v[22:23], v[20:21]
	s_and_b64 s[28:29], vcc, s[4:5]
	s_and_b64 s[4:5], s[8:9], exec
	s_andn2_b64 s[6:7], s[6:7], exec
	s_and_b64 s[8:9], s[28:29], exec
	s_or_b64 s[6:7], s[6:7], s[8:9]
	s_or_b64 exec, exec, s[26:27]
	s_and_saveexec_b64 s[8:9], s[6:7]
	s_cbranch_execz .LBB0_241
.LBB0_246:                              ;   in Loop: Header=BB0_176 Depth=1
	v_add_f64 v[14:15], v[0:1], v[12:13]
	s_or_b64 s[4:5], s[4:5], exec
	v_pk_mov_b32 v[28:29], v[12:13], v[12:13] op_sel:[0,1]
	v_pk_mov_b32 v[30:31], v[2:3], v[2:3] op_sel:[0,1]
	v_pk_mov_b32 v[16:17], v[0:1], v[0:1] op_sel:[0,1]
	v_pk_mov_b32 v[18:19], v[12:13], v[12:13] op_sel:[0,1]
	s_or_b64 exec, exec, s[8:9]
	v_cmp_o_f64_e32 vcc, v[14:15], v[14:15]
	s_and_saveexec_b64 s[6:7], vcc
	s_cbranch_execnz .LBB0_242
	s_branch .LBB0_243
.LBB0_247:
	s_or_b64 exec, exec, s[10:11]
.LBB0_248:
	v_ashrrev_i32_e32 v0, 31, v9
	v_add_u32_sdwa v0, v9, v0 dst_sel:DWORD dst_unused:UNUSED_PAD src0_sel:DWORD src1_sel:WORD_1
	v_ashrrev_i32_e32 v9, 31, v8
	v_ashrrev_i32_e32 v2, 16, v0
	v_lshlrev_b64 v[0:1], 2, v[8:9]
	v_mov_b32_e32 v3, s15
	v_add_co_u32_e32 v0, vcc, s14, v0
	v_addc_co_u32_e32 v1, vcc, v3, v1, vcc
	global_store_dword v[0:1], v2, off
	s_endpgm
	.section	.rodata,"a",@progbits
	.p2align	6, 0x0
	.amdhsa_kernel _Z20test_interval_newtonIdEvP12interval_gpuIT_EPiS2_i
		.amdhsa_group_segment_fixed_size 0
		.amdhsa_private_segment_fixed_size 2064
		.amdhsa_kernarg_size 36
		.amdhsa_user_sgpr_count 8
		.amdhsa_user_sgpr_private_segment_buffer 1
		.amdhsa_user_sgpr_dispatch_ptr 0
		.amdhsa_user_sgpr_queue_ptr 0
		.amdhsa_user_sgpr_kernarg_segment_ptr 1
		.amdhsa_user_sgpr_dispatch_id 0
		.amdhsa_user_sgpr_flat_scratch_init 1
		.amdhsa_user_sgpr_kernarg_preload_length 0
		.amdhsa_user_sgpr_kernarg_preload_offset 0
		.amdhsa_user_sgpr_private_segment_size 0
		.amdhsa_uses_dynamic_stack 0
		.amdhsa_system_sgpr_private_segment_wavefront_offset 1
		.amdhsa_system_sgpr_workgroup_id_x 1
		.amdhsa_system_sgpr_workgroup_id_y 0
		.amdhsa_system_sgpr_workgroup_id_z 0
		.amdhsa_system_sgpr_workgroup_info 0
		.amdhsa_system_vgpr_workitem_id 0
		.amdhsa_next_free_vgpr 52
		.amdhsa_next_free_sgpr 48
		.amdhsa_accum_offset 52
		.amdhsa_reserve_vcc 1
		.amdhsa_reserve_flat_scratch 0
		.amdhsa_float_round_mode_32 0
		.amdhsa_float_round_mode_16_64 0
		.amdhsa_float_denorm_mode_32 3
		.amdhsa_float_denorm_mode_16_64 3
		.amdhsa_dx10_clamp 1
		.amdhsa_ieee_mode 1
		.amdhsa_fp16_overflow 0
		.amdhsa_tg_split 0
		.amdhsa_exception_fp_ieee_invalid_op 0
		.amdhsa_exception_fp_denorm_src 0
		.amdhsa_exception_fp_ieee_div_zero 0
		.amdhsa_exception_fp_ieee_overflow 0
		.amdhsa_exception_fp_ieee_underflow 0
		.amdhsa_exception_fp_ieee_inexact 0
		.amdhsa_exception_int_div_zero 0
	.end_amdhsa_kernel
	.section	.text._Z20test_interval_newtonIdEvP12interval_gpuIT_EPiS2_i,"axG",@progbits,_Z20test_interval_newtonIdEvP12interval_gpuIT_EPiS2_i,comdat
.Lfunc_end0:
	.size	_Z20test_interval_newtonIdEvP12interval_gpuIT_EPiS2_i, .Lfunc_end0-_Z20test_interval_newtonIdEvP12interval_gpuIT_EPiS2_i
                                        ; -- End function
	.section	.AMDGPU.csdata,"",@progbits
; Kernel info:
; codeLenInByte = 8716
; NumSgprs: 52
; NumVgprs: 52
; NumAgprs: 0
; TotalNumVgprs: 52
; ScratchSize: 2064
; MemoryBound: 0
; FloatMode: 240
; IeeeMode: 1
; LDSByteSize: 0 bytes/workgroup (compile time only)
; SGPRBlocks: 6
; VGPRBlocks: 6
; NumSGPRsForWavesPerEU: 52
; NumVGPRsForWavesPerEU: 52
; AccumOffset: 52
; Occupancy: 8
; WaveLimiterHint : 0
; COMPUTE_PGM_RSRC2:SCRATCH_EN: 1
; COMPUTE_PGM_RSRC2:USER_SGPR: 8
; COMPUTE_PGM_RSRC2:TRAP_HANDLER: 0
; COMPUTE_PGM_RSRC2:TGID_X_EN: 1
; COMPUTE_PGM_RSRC2:TGID_Y_EN: 0
; COMPUTE_PGM_RSRC2:TGID_Z_EN: 0
; COMPUTE_PGM_RSRC2:TIDIG_COMP_CNT: 0
; COMPUTE_PGM_RSRC3_GFX90A:ACCUM_OFFSET: 12
; COMPUTE_PGM_RSRC3_GFX90A:TG_SPLIT: 0
	.text
	.p2alignl 6, 3212836864
	.fill 256, 4, 3212836864
	.type	__hip_cuid_bd5bf04cc799f8c1,@object ; @__hip_cuid_bd5bf04cc799f8c1
	.section	.bss,"aw",@nobits
	.globl	__hip_cuid_bd5bf04cc799f8c1
__hip_cuid_bd5bf04cc799f8c1:
	.byte	0                               ; 0x0
	.size	__hip_cuid_bd5bf04cc799f8c1, 1

	.ident	"AMD clang version 19.0.0git (https://github.com/RadeonOpenCompute/llvm-project roc-6.4.0 25133 c7fe45cf4b819c5991fe208aaa96edf142730f1d)"
	.section	".note.GNU-stack","",@progbits
	.addrsig
	.addrsig_sym __hip_cuid_bd5bf04cc799f8c1
	.amdgpu_metadata
---
amdhsa.kernels:
  - .agpr_count:     0
    .args:
      - .address_space:  global
        .offset:         0
        .size:           8
        .value_kind:     global_buffer
      - .address_space:  global
        .offset:         8
        .size:           8
        .value_kind:     global_buffer
      - .offset:         16
        .size:           16
        .value_kind:     by_value
      - .offset:         32
        .size:           4
        .value_kind:     by_value
    .group_segment_fixed_size: 0
    .kernarg_segment_align: 8
    .kernarg_segment_size: 36
    .language:       OpenCL C
    .language_version:
      - 2
      - 0
    .max_flat_workgroup_size: 1024
    .name:           _Z20test_interval_newtonIdEvP12interval_gpuIT_EPiS2_i
    .private_segment_fixed_size: 2064
    .sgpr_count:     52
    .sgpr_spill_count: 0
    .symbol:         _Z20test_interval_newtonIdEvP12interval_gpuIT_EPiS2_i.kd
    .uniform_work_group_size: 1
    .uses_dynamic_stack: false
    .vgpr_count:     52
    .vgpr_spill_count: 0
    .wavefront_size: 64
amdhsa.target:   amdgcn-amd-amdhsa--gfx90a
amdhsa.version:
  - 1
  - 2
...

	.end_amdgpu_metadata
